;; amdgpu-corpus repo=ROCm/rocFFT kind=compiled arch=gfx1201 opt=O3
	.text
	.amdgcn_target "amdgcn-amd-amdhsa--gfx1201"
	.amdhsa_code_object_version 6
	.protected	bluestein_single_back_len330_dim1_sp_op_CI_CI ; -- Begin function bluestein_single_back_len330_dim1_sp_op_CI_CI
	.globl	bluestein_single_back_len330_dim1_sp_op_CI_CI
	.p2align	8
	.type	bluestein_single_back_len330_dim1_sp_op_CI_CI,@function
bluestein_single_back_len330_dim1_sp_op_CI_CI: ; @bluestein_single_back_len330_dim1_sp_op_CI_CI
; %bb.0:
	s_load_b128 s[8:11], s[0:1], 0x28
	v_mul_u32_u24_e32 v1, 0x7c2, v0
	s_mov_b32 s2, exec_lo
	s_delay_alu instid0(VALU_DEP_1) | instskip(NEXT) | instid1(VALU_DEP_1)
	v_lshrrev_b32_e32 v1, 16, v1
	v_mad_co_u64_u32 v[60:61], null, ttmp9, 3, v[1:2]
	v_mov_b32_e32 v61, 0
	s_wait_kmcnt 0x0
	s_delay_alu instid0(VALU_DEP_1)
	v_cmpx_gt_u64_e64 s[8:9], v[60:61]
	s_cbranch_execz .LBB0_23
; %bb.1:
	v_mul_hi_u32 v2, 0xaaaaaaab, v60
	s_clause 0x1
	s_load_b64 s[12:13], s[0:1], 0x0
	s_load_b64 s[8:9], s[0:1], 0x38
	v_mul_lo_u16 v1, v1, 33
	s_delay_alu instid0(VALU_DEP_1) | instskip(NEXT) | instid1(VALU_DEP_3)
	v_sub_nc_u16 v0, v0, v1
	v_lshrrev_b32_e32 v2, 1, v2
	s_delay_alu instid0(VALU_DEP_2) | instskip(NEXT) | instid1(VALU_DEP_2)
	v_and_b32_e32 v63, 0xffff, v0
	v_lshl_add_u32 v2, v2, 1, v2
	v_cmp_gt_u16_e32 vcc_lo, 30, v0
	s_delay_alu instid0(VALU_DEP_3) | instskip(NEXT) | instid1(VALU_DEP_3)
	v_lshlrev_b32_e32 v64, 3, v63
	v_sub_nc_u32_e32 v1, v60, v2
	s_delay_alu instid0(VALU_DEP_1) | instskip(NEXT) | instid1(VALU_DEP_1)
	v_mul_u32_u24_e32 v65, 0x14a, v1
	v_lshlrev_b32_e32 v66, 3, v65
	s_and_saveexec_b32 s3, vcc_lo
	s_cbranch_execz .LBB0_3
; %bb.2:
	s_load_b64 s[4:5], s[0:1], 0x18
	s_delay_alu instid0(VALU_DEP_1)
	v_lshl_add_u32 v46, v63, 3, v66
	v_add_nc_u32_e32 v47, v66, v64
	s_wait_kmcnt 0x0
	s_load_b128 s[4:7], s[4:5], 0x0
	s_wait_kmcnt 0x0
	v_mad_co_u64_u32 v[0:1], null, s6, v60, 0
	v_mad_co_u64_u32 v[2:3], null, s4, v63, 0
	s_delay_alu instid0(VALU_DEP_1) | instskip(NEXT) | instid1(VALU_DEP_1)
	v_mad_co_u64_u32 v[4:5], null, s7, v60, v[1:2]
	v_mad_co_u64_u32 v[5:6], null, s5, v63, v[3:4]
	v_mov_b32_e32 v1, v4
	s_mul_u64 s[4:5], s[4:5], 0xf0
	s_delay_alu instid0(VALU_DEP_1) | instskip(NEXT) | instid1(VALU_DEP_3)
	v_lshlrev_b64_e32 v[0:1], 3, v[0:1]
	v_mov_b32_e32 v3, v5
	s_delay_alu instid0(VALU_DEP_1) | instskip(NEXT) | instid1(VALU_DEP_3)
	v_lshlrev_b64_e32 v[2:3], 3, v[2:3]
	v_add_co_u32 v10, s2, s10, v0
	s_delay_alu instid0(VALU_DEP_1)
	v_add_co_ci_u32_e64 v11, s2, s11, v1, s2
	s_clause 0x3
	global_load_b64 v[0:1], v64, s[12:13]
	global_load_b64 v[4:5], v64, s[12:13] offset:240
	global_load_b64 v[6:7], v64, s[12:13] offset:480
	;; [unrolled: 1-line block ×3, first 2 shown]
	v_add_co_u32 v2, s2, v10, v2
	s_wait_alu 0xf1ff
	v_add_co_ci_u32_e64 v3, s2, v11, v3, s2
	s_clause 0x3
	global_load_b64 v[12:13], v64, s[12:13] offset:960
	global_load_b64 v[14:15], v64, s[12:13] offset:1200
	;; [unrolled: 1-line block ×4, first 2 shown]
	s_wait_alu 0xfffe
	v_add_co_u32 v10, s2, v2, s4
	s_wait_alu 0xf1ff
	v_add_co_ci_u32_e64 v11, s2, s5, v3, s2
	global_load_b64 v[2:3], v[2:3], off
	v_add_co_u32 v20, s2, v10, s4
	s_wait_alu 0xf1ff
	v_add_co_ci_u32_e64 v21, s2, s5, v11, s2
	global_load_b64 v[24:25], v64, s[12:13] offset:1920
	v_add_co_u32 v22, s2, v20, s4
	s_wait_alu 0xf1ff
	v_add_co_ci_u32_e64 v23, s2, s5, v21, s2
	s_delay_alu instid0(VALU_DEP_2) | instskip(SKIP_1) | instid1(VALU_DEP_2)
	v_add_co_u32 v26, s2, v22, s4
	s_wait_alu 0xf1ff
	v_add_co_ci_u32_e64 v27, s2, s5, v23, s2
	s_clause 0x2
	global_load_b64 v[10:11], v[10:11], off
	global_load_b64 v[20:21], v[20:21], off
	global_load_b64 v[22:23], v[22:23], off
	v_add_co_u32 v28, s2, v26, s4
	s_wait_alu 0xf1ff
	v_add_co_ci_u32_e64 v29, s2, s5, v27, s2
	global_load_b64 v[26:27], v[26:27], off
	v_add_co_u32 v30, s2, v28, s4
	s_wait_alu 0xf1ff
	v_add_co_ci_u32_e64 v31, s2, s5, v29, s2
	global_load_b64 v[28:29], v[28:29], off
	;; [unrolled: 4-line block ×6, first 2 shown]
	s_clause 0x1
	global_load_b64 v[40:41], v64, s[12:13] offset:2160
	global_load_b64 v[42:43], v64, s[12:13] offset:2400
	global_load_b64 v[38:39], v[38:39], off
	s_wait_loadcnt 0xd
	v_mul_f32_e32 v44, v3, v1
	v_mul_f32_e32 v1, v2, v1
	s_delay_alu instid0(VALU_DEP_2) | instskip(SKIP_2) | instid1(VALU_DEP_3)
	v_fmac_f32_e32 v44, v2, v0
	s_wait_loadcnt 0xa
	v_mul_f32_e32 v2, v21, v7
	v_fma_f32 v45, v3, v0, -v1
	v_mul_f32_e32 v0, v11, v5
	v_mul_f32_e32 v1, v10, v5
	;; [unrolled: 1-line block ×3, first 2 shown]
	s_wait_loadcnt 0x9
	v_dual_fmac_f32 v2, v20, v6 :: v_dual_mul_f32 v5, v23, v9
	v_fmac_f32_e32 v0, v10, v4
	v_fma_f32 v1, v11, v4, -v1
	v_mul_f32_e32 v4, v22, v9
	v_fma_f32 v3, v21, v6, -v3
	s_wait_loadcnt 0x7
	v_dual_mul_f32 v9, v29, v15 :: v_dual_mul_f32 v10, v26, v13
	v_mul_f32_e32 v7, v27, v13
	v_fma_f32 v6, v23, v8, -v4
	v_dual_mul_f32 v4, v28, v15 :: v_dual_fmac_f32 v5, v22, v8
	s_delay_alu instid0(VALU_DEP_4)
	v_fmac_f32_e32 v9, v28, v14
	v_fma_f32 v8, v27, v12, -v10
	s_wait_loadcnt 0x6
	v_mul_f32_e32 v11, v31, v17
	v_fma_f32 v10, v29, v14, -v4
	s_wait_loadcnt 0x5
	v_dual_mul_f32 v4, v30, v17 :: v_dual_mul_f32 v13, v33, v19
	s_delay_alu instid0(VALU_DEP_3)
	v_dual_mul_f32 v14, v32, v19 :: v_dual_fmac_f32 v11, v30, v16
	ds_store_b64 v46, v[44:45]
	s_wait_loadcnt 0x4
	v_mul_f32_e32 v15, v35, v25
	v_fmac_f32_e32 v13, v32, v18
	v_fma_f32 v14, v33, v18, -v14
	s_wait_loadcnt 0x2
	v_mul_f32_e32 v17, v37, v41
	v_mul_f32_e32 v18, v36, v41
	s_wait_loadcnt 0x0
	v_mul_f32_e32 v20, v38, v43
	v_fmac_f32_e32 v7, v26, v12
	v_fma_f32 v12, v31, v16, -v4
	v_dual_mul_f32 v4, v34, v25 :: v_dual_mul_f32 v19, v39, v43
	v_fmac_f32_e32 v15, v34, v24
	v_fmac_f32_e32 v17, v36, v40
	v_fma_f32 v18, v37, v40, -v18
	s_delay_alu instid0(VALU_DEP_4)
	v_fma_f32 v16, v35, v24, -v4
	v_fmac_f32_e32 v19, v38, v42
	v_fma_f32 v20, v39, v42, -v20
	v_add_nc_u32_e32 v4, 0x800, v47
	ds_store_2addr_b64 v47, v[0:1], v[2:3] offset0:30 offset1:60
	ds_store_2addr_b64 v47, v[5:6], v[7:8] offset0:90 offset1:120
	;; [unrolled: 1-line block ×5, first 2 shown]
.LBB0_3:
	s_or_b32 exec_lo, exec_lo, s3
	s_load_b64 s[4:5], s[0:1], 0x20
	v_mov_b32_e32 v4, 0
	v_mov_b32_e32 v5, 0
	global_wb scope:SCOPE_SE
	s_wait_dscnt 0x0
	s_wait_kmcnt 0x0
	s_barrier_signal -1
	s_barrier_wait -1
	global_inv scope:SCOPE_SE
                                        ; implicit-def: $vgpr12
                                        ; implicit-def: $vgpr8
                                        ; implicit-def: $vgpr0
                                        ; implicit-def: $vgpr18
                                        ; implicit-def: $vgpr22
	s_and_saveexec_b32 s2, vcc_lo
	s_cbranch_execz .LBB0_5
; %bb.4:
	v_lshl_add_u32 v0, v65, 3, v64
	s_delay_alu instid0(VALU_DEP_1)
	v_add_nc_u32_e32 v1, 0x400, v0
	ds_load_2addr_b64 v[4:7], v0 offset1:30
	ds_load_2addr_b64 v[20:23], v0 offset0:60 offset1:90
	ds_load_2addr_b64 v[16:19], v0 offset0:120 offset1:150
	;; [unrolled: 1-line block ×4, first 2 shown]
	ds_load_b64 v[0:1], v0 offset:2400
.LBB0_5:
	s_wait_alu 0xfffe
	s_or_b32 exec_lo, exec_lo, s2
	s_wait_dscnt 0x0
	v_dual_sub_f32 v44, v7, v1 :: v_dual_sub_f32 v47, v6, v0
	v_add_f32_e32 v24, v0, v6
	v_dual_add_f32 v26, v1, v7 :: v_dual_add_f32 v25, v10, v20
	s_delay_alu instid0(VALU_DEP_3) | instskip(NEXT) | instid1(VALU_DEP_4)
	v_dual_mul_f32 v34, 0xbf0a6770, v44 :: v_dual_sub_f32 v45, v21, v11
	v_dual_mul_f32 v37, 0xbf0a6770, v47 :: v_dual_sub_f32 v46, v20, v10
	v_dual_sub_f32 v48, v23, v9 :: v_dual_add_f32 v29, v9, v23
	s_delay_alu instid0(VALU_DEP_3) | instskip(NEXT) | instid1(VALU_DEP_3)
	v_dual_fmamk_f32 v2, v24, 0x3f575c64, v34 :: v_dual_add_f32 v27, v11, v21
	v_fma_f32 v3, 0x3f575c64, v26, -v37
	v_mul_f32_e32 v35, 0xbf68dda4, v45
	s_delay_alu instid0(VALU_DEP_3) | instskip(SKIP_1) | instid1(VALU_DEP_3)
	v_dual_mul_f32 v39, 0xbf68dda4, v46 :: v_dual_add_f32 v2, v2, v4
	v_dual_add_f32 v28, v8, v22 :: v_dual_sub_f32 v51, v17, v15
	v_dual_add_f32 v3, v3, v5 :: v_dual_fmamk_f32 v30, v25, 0x3ed4b147, v35
	s_delay_alu instid0(VALU_DEP_3) | instskip(SKIP_1) | instid1(VALU_DEP_4)
	v_fma_f32 v31, 0x3ed4b147, v27, -v39
	v_dual_sub_f32 v50, v22, v8 :: v_dual_sub_f32 v53, v16, v14
	v_mul_f32_e32 v38, 0xbf4178ce, v51
	v_add_f32_e32 v33, v13, v19
	s_delay_alu instid0(VALU_DEP_4) | instskip(NEXT) | instid1(VALU_DEP_4)
	v_dual_add_f32 v3, v31, v3 :: v_dual_mul_f32 v36, 0xbf7d64f0, v48
	v_mul_f32_e32 v41, 0xbf7d64f0, v50
	v_add_f32_e32 v2, v30, v2
	v_add_f32_e32 v30, v14, v16
	v_mul_f32_e32 v42, 0xbf4178ce, v53
	v_fmamk_f32 v31, v28, 0xbe11bafb, v36
	v_fma_f32 v32, 0xbe11bafb, v29, -v41
	s_load_b64 s[2:3], s[0:1], 0x8
	v_sub_f32_e32 v49, v19, v13
	v_mul_lo_u16 v67, v63, 11
	s_delay_alu instid0(VALU_DEP_3)
	v_dual_add_f32 v2, v31, v2 :: v_dual_add_f32 v3, v32, v3
	v_dual_add_f32 v31, v15, v17 :: v_dual_fmamk_f32 v54, v30, 0xbf27a4f4, v38
	global_wb scope:SCOPE_SE
	s_wait_kmcnt 0x0
	s_barrier_signal -1
	s_barrier_wait -1
	v_fma_f32 v55, 0xbf27a4f4, v31, -v42
	v_sub_f32_e32 v52, v18, v12
	v_add_f32_e32 v2, v54, v2
	global_inv scope:SCOPE_SE
	v_dual_add_f32 v3, v55, v3 :: v_dual_add_f32 v32, v12, v18
	v_mul_f32_e32 v43, 0xbe903f40, v52
	s_delay_alu instid0(VALU_DEP_1) | instskip(NEXT) | instid1(VALU_DEP_1)
	v_fma_f32 v55, 0xbf75a155, v33, -v43
	v_dual_mul_f32 v40, 0xbe903f40, v49 :: v_dual_add_f32 v3, v55, v3
	s_delay_alu instid0(VALU_DEP_1) | instskip(NEXT) | instid1(VALU_DEP_1)
	v_fmamk_f32 v54, v32, 0xbf75a155, v40
	v_add_f32_e32 v2, v54, v2
	s_and_saveexec_b32 s0, vcc_lo
	s_cbranch_execz .LBB0_7
; %bb.6:
	v_mul_f32_e32 v58, 0xbe903f40, v47
	v_mul_f32_e32 v68, 0xbe903f40, v44
	v_dual_mul_f32 v59, 0x3f0a6770, v46 :: v_dual_mul_f32 v70, 0x3f0a6770, v45
	v_dual_mul_f32 v62, 0x3f68dda4, v53 :: v_dual_mul_f32 v73, 0x3f68dda4, v51
	s_delay_alu instid0(VALU_DEP_4) | instskip(NEXT) | instid1(VALU_DEP_4)
	v_fmamk_f32 v54, v26, 0xbf75a155, v58
	v_fma_f32 v56, 0xbf75a155, v24, -v68
	v_mul_f32_e32 v61, 0xbf4178ce, v50
	v_fmamk_f32 v55, v27, 0x3f575c64, v59
	v_fma_f32 v72, 0x3f575c64, v25, -v70
	v_add_f32_e32 v54, v54, v5
	v_add_f32_e32 v56, v56, v4
	v_mul_f32_e32 v69, 0xbf7d64f0, v52
	v_fmamk_f32 v57, v29, 0xbf27a4f4, v61
	v_add_f32_e32 v7, v7, v5
	v_add_f32_e32 v54, v55, v54
	;; [unrolled: 1-line block ×3, first 2 shown]
	v_mul_f32_e32 v71, 0xbf4178ce, v48
	s_delay_alu instid0(VALU_DEP_4) | instskip(NEXT) | instid1(VALU_DEP_4)
	v_dual_mul_f32 v78, 0x3f7d64f0, v45 :: v_dual_add_f32 v7, v21, v7
	v_add_f32_e32 v54, v57, v54
	v_fma_f32 v75, 0x3ed4b147, v30, -v73
	s_delay_alu instid0(VALU_DEP_4)
	v_fma_f32 v74, 0xbf27a4f4, v28, -v71
	v_fmamk_f32 v55, v31, 0x3ed4b147, v62
	v_fma_f32 v81, 0xbe11bafb, v25, -v78
	v_mul_f32_e32 v76, 0xbf4178ce, v44
	v_dual_mul_f32 v83, 0xbe903f40, v53 :: v_dual_mul_f32 v84, 0xbe903f40, v51
	v_dual_add_f32 v56, v74, v56 :: v_dual_fmamk_f32 v57, v33, 0xbe11bafb, v69
	v_add_f32_e32 v54, v55, v54
	v_dual_mul_f32 v74, 0xbf7d64f0, v49 :: v_dual_mul_f32 v87, 0xbf7d64f0, v47
	s_delay_alu instid0(VALU_DEP_3) | instskip(NEXT) | instid1(VALU_DEP_3)
	v_dual_add_f32 v56, v75, v56 :: v_dual_mul_f32 v75, 0x3f7d64f0, v46
	v_add_f32_e32 v55, v57, v54
	v_fma_f32 v57, 0xbf27a4f4, v24, -v76
	s_delay_alu instid0(VALU_DEP_4) | instskip(SKIP_2) | instid1(VALU_DEP_4)
	v_fma_f32 v54, 0xbe11bafb, v32, -v74
	v_dual_mul_f32 v85, 0x3f68dda4, v52 :: v_dual_mul_f32 v86, 0x3f68dda4, v49
	v_fmamk_f32 v79, v27, 0xbe11bafb, v75
	v_add_f32_e32 v57, v57, v4
	s_delay_alu instid0(VALU_DEP_4)
	v_add_f32_e32 v54, v54, v56
	v_mul_f32_e32 v72, 0xbf4178ce, v47
	v_fma_f32 v88, 0x3ed4b147, v32, -v86
	v_fmamk_f32 v89, v26, 0xbe11bafb, v87
	v_dual_add_f32 v57, v81, v57 :: v_dual_mul_f32 v82, 0xbf0a6770, v48
	v_mul_f32_e32 v91, 0x3f68dda4, v48
	v_mul_f32_e32 v93, 0xbf4178ce, v49
	;; [unrolled: 1-line block ×3, first 2 shown]
	v_add_f32_e32 v23, v23, v7
	v_fma_f32 v81, 0x3f575c64, v28, -v82
	v_fma_f32 v7, 0x3ed4b147, v28, -v91
	;; [unrolled: 1-line block ×3, first 2 shown]
	v_fmac_f32_e32 v71, 0xbf27a4f4, v28
	s_delay_alu instid0(VALU_DEP_4) | instskip(SKIP_3) | instid1(VALU_DEP_4)
	v_dual_add_f32 v6, v6, v4 :: v_dual_add_f32 v57, v81, v57
	v_fma_f32 v81, 0xbf75a155, v30, -v84
	v_mul_f32_e32 v90, 0x3e903f40, v46
	v_mul_f32_e32 v92, 0xbf0a6770, v53
	v_add_f32_e32 v6, v20, v6
	s_delay_alu instid0(VALU_DEP_4) | instskip(SKIP_1) | instid1(VALU_DEP_3)
	v_dual_mul_f32 v46, 0xbf4178ce, v46 :: v_dual_add_f32 v81, v81, v57
	v_fmamk_f32 v77, v26, 0xbf27a4f4, v72
	v_dual_mul_f32 v53, 0x3f7d64f0, v53 :: v_dual_add_f32 v22, v22, v6
	s_delay_alu instid0(VALU_DEP_3) | instskip(NEXT) | instid1(VALU_DEP_3)
	v_dual_mul_f32 v97, 0x3ed4b147, v27 :: v_dual_add_f32 v56, v88, v81
	v_dual_add_f32 v77, v77, v5 :: v_dual_mul_f32 v88, 0x3f68dda4, v50
	s_delay_alu instid0(VALU_DEP_3) | instskip(NEXT) | instid1(VALU_DEP_2)
	v_dual_add_f32 v16, v16, v22 :: v_dual_mul_f32 v81, 0xbf7d64f0, v44
	v_dual_mul_f32 v44, 0xbf68dda4, v44 :: v_dual_add_f32 v77, v79, v77
	v_mul_f32_e32 v80, 0xbf0a6770, v50
	s_delay_alu instid0(VALU_DEP_4) | instskip(NEXT) | instid1(VALU_DEP_4)
	v_dual_fmamk_f32 v20, v29, 0x3ed4b147, v88 :: v_dual_add_f32 v39, v39, v97
	v_dual_mul_f32 v49, 0x3f0a6770, v49 :: v_dual_add_f32 v16, v18, v16
	s_delay_alu instid0(VALU_DEP_3) | instskip(SKIP_3) | instid1(VALU_DEP_4)
	v_fmamk_f32 v79, v29, 0x3f575c64, v80
	v_mul_f32_e32 v50, 0x3e903f40, v50
	v_fmac_f32_e32 v68, 0xbf75a155, v24
	v_fmac_f32_e32 v70, 0x3f575c64, v25
	v_dual_add_f32 v12, v12, v16 :: v_dual_add_f32 v77, v79, v77
	v_fmamk_f32 v79, v31, 0xbf75a155, v83
	v_fma_f32 v16, 0xbf75a155, v26, -v58
	v_fmac_f32_e32 v76, 0xbf27a4f4, v24
	s_delay_alu instid0(VALU_DEP_4) | instskip(NEXT) | instid1(VALU_DEP_4)
	v_add_f32_e32 v14, v14, v12
	v_dual_fmac_f32 v74, 0xbe11bafb, v32 :: v_dual_add_f32 v77, v79, v77
	v_fmamk_f32 v79, v33, 0x3ed4b147, v85
	v_fmac_f32_e32 v84, 0xbf75a155, v30
	s_delay_alu instid0(VALU_DEP_4)
	v_add_f32_e32 v8, v8, v14
	v_fma_f32 v14, 0xbf27a4f4, v29, -v61
	v_fmac_f32_e32 v78, 0xbe11bafb, v25
	v_add_f32_e32 v57, v79, v77
	v_add_f32_e32 v77, v89, v5
	v_fmamk_f32 v79, v27, 0xbf75a155, v90
	v_mul_f32_e32 v89, 0x3e903f40, v45
	v_dual_mul_f32 v45, 0xbf4178ce, v45 :: v_dual_add_f32 v8, v10, v8
	v_fma_f32 v10, 0x3ed4b147, v31, -v62
	s_delay_alu instid0(VALU_DEP_4) | instskip(SKIP_1) | instid1(VALU_DEP_4)
	v_add_f32_e32 v77, v79, v77
	v_fma_f32 v79, 0xbe11bafb, v24, -v81
	v_fma_f32 v95, 0xbf27a4f4, v25, -v45
	v_add_f32_e32 v0, v0, v8
	v_fma_f32 v8, 0xbf27a4f4, v26, -v72
	s_delay_alu instid0(VALU_DEP_4)
	v_dual_add_f32 v20, v20, v77 :: v_dual_add_f32 v21, v79, v4
	v_fma_f32 v79, 0xbf75a155, v25, -v89
	v_mul_f32_e32 v77, 0xbf4178ce, v52
	v_mul_f32_e32 v52, 0x3f0a6770, v52
	;; [unrolled: 1-line block ×3, first 2 shown]
	v_add_f32_e32 v8, v8, v5
	v_dual_add_f32 v6, v79, v21 :: v_dual_mul_f32 v79, 0xbf0a6770, v51
	v_fmamk_f32 v21, v31, 0x3f575c64, v92
	v_mul_f32_e32 v51, 0x3f7d64f0, v51
	v_fmac_f32_e32 v86, 0x3ed4b147, v32
	s_delay_alu instid0(VALU_DEP_4) | instskip(SKIP_4) | instid1(VALU_DEP_4)
	v_add_f32_e32 v6, v7, v6
	v_fma_f32 v7, 0x3f575c64, v30, -v79
	v_add_f32_e32 v20, v21, v20
	v_fmamk_f32 v21, v33, 0xbf27a4f4, v77
	v_fmac_f32_e32 v82, 0x3f575c64, v28
	v_dual_add_f32 v6, v7, v6 :: v_dual_fmac_f32 v81, 0xbe11bafb, v24
	s_delay_alu instid0(VALU_DEP_1) | instskip(NEXT) | instid1(VALU_DEP_4)
	v_add_f32_e32 v6, v94, v6
	v_dual_fmamk_f32 v94, v27, 0xbf27a4f4, v46 :: v_dual_add_f32 v7, v21, v20
	v_fmamk_f32 v20, v26, 0x3ed4b147, v47
	v_fma_f32 v21, 0x3ed4b147, v24, -v44
	v_add_f32_e32 v17, v17, v23
	v_fmac_f32_e32 v89, 0xbf75a155, v25
	v_fmac_f32_e32 v44, 0x3ed4b147, v24
	s_delay_alu instid0(VALU_DEP_4) | instskip(NEXT) | instid1(VALU_DEP_4)
	v_dual_add_f32 v20, v20, v5 :: v_dual_add_f32 v21, v21, v4
	v_add_f32_e32 v17, v19, v17
	v_fmac_f32_e32 v91, 0x3ed4b147, v28
	s_delay_alu instid0(VALU_DEP_3) | instskip(SKIP_1) | instid1(VALU_DEP_4)
	v_dual_mul_f32 v19, 0xbf27a4f4, v30 :: v_dual_add_f32 v20, v94, v20
	v_fmamk_f32 v94, v29, 0xbf75a155, v50
	v_add_f32_e32 v17, v13, v17
	v_fmac_f32_e32 v79, 0x3f575c64, v30
	v_fmac_f32_e32 v73, 0x3ed4b147, v30
	s_delay_alu instid0(VALU_DEP_4) | instskip(SKIP_2) | instid1(VALU_DEP_2)
	v_dual_sub_f32 v19, v19, v38 :: v_dual_add_f32 v20, v94, v20
	v_fmamk_f32 v94, v31, 0xbe11bafb, v53
	v_dual_mul_f32 v48, 0x3e903f40, v48 :: v_dual_add_f32 v21, v95, v21
	v_dual_add_f32 v15, v15, v17 :: v_dual_add_f32 v20, v94, v20
	s_delay_alu instid0(VALU_DEP_2) | instskip(NEXT) | instid1(VALU_DEP_2)
	v_fma_f32 v95, 0xbf75a155, v28, -v48
	v_dual_fmac_f32 v48, 0xbf75a155, v28 :: v_dual_add_f32 v9, v9, v15
	v_add_f32_e32 v15, v16, v5
	v_fma_f32 v16, 0x3f575c64, v27, -v59
	s_delay_alu instid0(VALU_DEP_4) | instskip(SKIP_4) | instid1(VALU_DEP_4)
	v_add_f32_e32 v21, v95, v21
	v_fma_f32 v95, 0xbe11bafb, v30, -v51
	v_add_f32_e32 v9, v11, v9
	v_fmac_f32_e32 v93, 0xbf27a4f4, v32
	v_add_f32_e32 v11, v16, v15
	v_dual_add_f32 v15, v68, v4 :: v_dual_add_f32 v94, v95, v21
	v_fmamk_f32 v21, v33, 0x3f575c64, v52
	v_add_f32_e32 v37, v37, v96
	v_mul_f32_e32 v95, 0xbe11bafb, v29
	v_add_f32_e32 v1, v1, v9
	v_add_f32_e32 v9, v14, v11
	;; [unrolled: 1-line block ×3, first 2 shown]
	v_dual_add_f32 v37, v37, v5 :: v_dual_mul_f32 v20, 0x3f575c64, v24
	v_add_f32_e32 v11, v70, v15
	v_fma_f32 v14, 0xbe11bafb, v27, -v75
	v_fma_f32 v16, 0xbf75a155, v27, -v90
	s_delay_alu instid0(VALU_DEP_4) | instskip(SKIP_4) | instid1(VALU_DEP_4)
	v_add_f32_e32 v37, v39, v37
	v_add_f32_e32 v39, v41, v95
	v_mul_f32_e32 v41, 0xbf27a4f4, v31
	v_dual_mul_f32 v95, 0x3ed4b147, v25 :: v_dual_sub_f32 v20, v20, v34
	v_fma_f32 v34, 0x3f575c64, v32, -v49
	v_add_f32_e32 v37, v39, v37
	s_delay_alu instid0(VALU_DEP_4) | instskip(NEXT) | instid1(VALU_DEP_4)
	v_add_f32_e32 v39, v42, v41
	v_sub_f32_e32 v35, v95, v35
	s_delay_alu instid0(VALU_DEP_4) | instskip(NEXT) | instid1(VALU_DEP_3)
	v_dual_add_f32 v41, v20, v4 :: v_dual_add_f32 v20, v34, v94
	v_dual_mul_f32 v34, 0xbe11bafb, v28 :: v_dual_add_f32 v23, v39, v37
	v_add_f32_e32 v11, v71, v11
	s_delay_alu instid0(VALU_DEP_3) | instskip(NEXT) | instid1(VALU_DEP_3)
	v_add_f32_e32 v35, v35, v41
	v_dual_fmac_f32 v45, 0xbf27a4f4, v25 :: v_dual_sub_f32 v34, v34, v36
	v_add_f32_e32 v9, v10, v9
	v_fma_f32 v10, 0xbe11bafb, v33, -v69
	v_dual_mul_f32 v37, 0xbf75a155, v33 :: v_dual_mul_f32 v36, 0xbf75a155, v32
	s_delay_alu instid0(VALU_DEP_4) | instskip(NEXT) | instid1(VALU_DEP_3)
	v_dual_add_f32 v18, v34, v35 :: v_dual_fmac_f32 v49, 0x3f575c64, v32
	v_dual_add_f32 v9, v10, v9 :: v_dual_add_f32 v10, v73, v11
	v_add_f32_e32 v11, v14, v8
	s_delay_alu instid0(VALU_DEP_4) | instskip(SKIP_1) | instid1(VALU_DEP_4)
	v_dual_add_f32 v15, v76, v4 :: v_dual_add_f32 v22, v43, v37
	v_fma_f32 v14, 0x3f575c64, v29, -v80
	v_add_f32_e32 v8, v74, v10
	v_fma_f32 v10, 0xbe11bafb, v26, -v87
	v_dual_add_f32 v17, v19, v18 :: v_dual_sub_f32 v18, v36, v40
	v_add_f32_e32 v13, v22, v23
	v_add_f32_e32 v15, v78, v15
	s_delay_alu instid0(VALU_DEP_4) | instskip(NEXT) | instid1(VALU_DEP_4)
	v_dual_add_f32 v10, v10, v5 :: v_dual_fmac_f32 v51, 0xbe11bafb, v30
	v_dual_add_f32 v12, v18, v17 :: v_dual_add_f32 v17, v81, v4
	v_add_f32_e32 v4, v44, v4
	v_and_b32_e32 v18, 0xffff, v67
	s_delay_alu instid0(VALU_DEP_4) | instskip(SKIP_1) | instid1(VALU_DEP_4)
	v_dual_add_f32 v15, v82, v15 :: v_dual_add_f32 v10, v16, v10
	v_fma_f32 v16, 0x3ed4b147, v29, -v88
	v_add_f32_e32 v4, v45, v4
	v_fma_f32 v19, 0x3f575c64, v33, -v52
	v_add_lshl_u32 v18, v65, v18, 3
	s_delay_alu instid0(VALU_DEP_3) | instskip(SKIP_1) | instid1(VALU_DEP_1)
	v_dual_add_f32 v4, v48, v4 :: v_dual_add_f32 v11, v14, v11
	v_fma_f32 v14, 0xbf75a155, v31, -v83
	v_dual_add_f32 v22, v51, v4 :: v_dual_add_f32 v11, v14, v11
	v_fma_f32 v14, 0x3ed4b147, v33, -v85
	s_delay_alu instid0(VALU_DEP_1) | instskip(SKIP_3) | instid1(VALU_DEP_3)
	v_add_f32_e32 v11, v14, v11
	v_add_f32_e32 v14, v84, v15
	v_add_f32_e32 v15, v16, v10
	v_fma_f32 v16, 0x3f575c64, v31, -v92
	v_add_f32_e32 v10, v86, v14
	v_fma_f32 v14, 0x3ed4b147, v26, -v47
	s_delay_alu instid0(VALU_DEP_3) | instskip(SKIP_1) | instid1(VALU_DEP_3)
	v_dual_add_f32 v15, v16, v15 :: v_dual_add_f32 v16, v89, v17
	v_fma_f32 v17, 0xbf27a4f4, v33, -v77
	v_add_f32_e32 v5, v14, v5
	v_fma_f32 v14, 0xbf27a4f4, v27, -v46
	s_delay_alu instid0(VALU_DEP_1) | instskip(SKIP_1) | instid1(VALU_DEP_1)
	v_dual_add_f32 v16, v91, v16 :: v_dual_add_f32 v5, v14, v5
	v_fma_f32 v14, 0xbf75a155, v29, -v50
	v_dual_add_f32 v16, v79, v16 :: v_dual_add_f32 v5, v14, v5
	v_fma_f32 v14, 0xbe11bafb, v31, -v53
	s_delay_alu instid0(VALU_DEP_2) | instskip(NEXT) | instid1(VALU_DEP_2)
	v_add_f32_e32 v4, v93, v16
	v_dual_add_f32 v14, v14, v5 :: v_dual_add_f32 v5, v17, v15
	s_delay_alu instid0(VALU_DEP_1)
	v_add_f32_e32 v15, v19, v14
	v_add_f32_e32 v14, v49, v22
	ds_store_2addr_b64 v18, v[0:1], v[12:13] offset1:1
	ds_store_2addr_b64 v18, v[20:21], v[6:7] offset0:2 offset1:3
	ds_store_2addr_b64 v18, v[56:57], v[54:55] offset0:4 offset1:5
	;; [unrolled: 1-line block ×4, first 2 shown]
	ds_store_b64 v18, v[2:3] offset:80
.LBB0_7:
	s_wait_alu 0xfffe
	s_or_b32 exec_lo, exec_lo, s0
	v_and_b32_e32 v0, 0xff, v63
	s_load_b128 s[4:7], s[4:5], 0x0
	global_wb scope:SCOPE_SE
	s_wait_dscnt 0x0
	s_wait_kmcnt 0x0
	s_barrier_signal -1
	s_barrier_wait -1
	v_mul_lo_u16 v0, 0x75, v0
	global_inv scope:SCOPE_SE
	v_add_lshl_u32 v68, v65, v63, 3
	v_cmp_gt_u16_e64 s0, 11, v63
	v_lshrrev_b16 v0, 8, v0
	s_delay_alu instid0(VALU_DEP_1) | instskip(NEXT) | instid1(VALU_DEP_1)
	v_sub_nc_u16 v1, v63, v0
	v_lshrrev_b16 v1, 1, v1
	s_delay_alu instid0(VALU_DEP_1) | instskip(NEXT) | instid1(VALU_DEP_1)
	v_and_b32_e32 v1, 0x7f, v1
	v_add_nc_u16 v0, v1, v0
	s_delay_alu instid0(VALU_DEP_1) | instskip(NEXT) | instid1(VALU_DEP_1)
	v_lshrrev_b16 v24, 3, v0
	v_mul_lo_u16 v0, v24, 11
	s_delay_alu instid0(VALU_DEP_1) | instskip(NEXT) | instid1(VALU_DEP_1)
	v_sub_nc_u16 v0, v63, v0
	v_and_b32_e32 v36, 0xff, v0
	s_delay_alu instid0(VALU_DEP_1)
	v_mad_co_u64_u32 v[0:1], null, 0x48, v36, s[2:3]
	s_clause 0x4
	global_load_b128 v[16:19], v[0:1], off
	global_load_b128 v[12:15], v[0:1], off offset:16
	global_load_b128 v[8:11], v[0:1], off offset:32
	;; [unrolled: 1-line block ×3, first 2 shown]
	global_load_b64 v[61:62], v[0:1], off offset:64
	v_and_b32_e32 v0, 0xffff, v24
	ds_load_2addr_b64 v[24:27], v68 offset0:66 offset1:99
	ds_load_2addr_b64 v[20:23], v68 offset1:33
	ds_load_2addr_b64 v[28:31], v68 offset0:132 offset1:165
	ds_load_2addr_b64 v[32:35], v68 offset0:198 offset1:231
	v_add_nc_u32_e32 v1, 0x800, v68
	s_wait_loadcnt_dscnt 0x403
	v_mul_f32_e32 v41, v24, v19
	s_wait_loadcnt 0x3
	v_mul_f32_e32 v43, v26, v13
	v_mul_u32_u24_e32 v0, 0x6e, v0
	v_mul_f32_e32 v40, v25, v19
	s_wait_loadcnt_dscnt 0x100
	v_dual_mul_f32 v44, v29, v15 :: v_dual_mul_f32 v51, v34, v5
	s_delay_alu instid0(VALU_DEP_3) | instskip(SKIP_2) | instid1(VALU_DEP_3)
	v_dual_mul_f32 v47, v30, v9 :: v_dual_add_nc_u32 v0, v0, v36
	v_dual_mul_f32 v42, v27, v13 :: v_dual_mul_f32 v45, v28, v15
	v_dual_mul_f32 v46, v31, v9 :: v_dual_mul_f32 v49, v32, v11
	v_add_lshl_u32 v70, v65, v0, 3
	v_mul_f32_e32 v0, v23, v17
	ds_load_2addr_b64 v[36:39], v1 offset0:8 offset1:41
	v_dual_mul_f32 v1, v22, v17 :: v_dual_mul_f32 v48, v33, v11
	v_mul_f32_e32 v50, v35, v5
	v_fma_f32 v0, v22, v16, -v0
	v_fma_f32 v22, v24, v18, -v40
	;; [unrolled: 1-line block ×3, first 2 shown]
	v_fmac_f32_e32 v41, v25, v18
	v_fmac_f32_e32 v43, v27, v12
	v_fma_f32 v25, v30, v8, -v46
	v_add_f32_e32 v30, v20, v22
	global_wb scope:SCOPE_SE
	s_wait_loadcnt_dscnt 0x0
	s_barrier_signal -1
	s_barrier_wait -1
	global_inv scope:SCOPE_SE
	v_fmac_f32_e32 v1, v23, v16
	v_fma_f32 v23, v26, v12, -v42
	v_mul_f32_e32 v52, v37, v7
	v_mul_f32_e32 v53, v36, v7
	v_mul_f32_e32 v55, v38, v62
	v_fma_f32 v26, v32, v10, -v48
	v_fma_f32 v27, v34, v4, -v50
	;; [unrolled: 1-line block ×3, first 2 shown]
	v_fmac_f32_e32 v45, v29, v14
	v_fmac_f32_e32 v49, v33, v10
	;; [unrolled: 1-line block ×3, first 2 shown]
	v_dual_fmac_f32 v55, v39, v61 :: v_dual_sub_f32 v42, v24, v26
	v_add_f32_e32 v36, v22, v28
	s_delay_alu instid0(VALU_DEP_4)
	v_dual_mul_f32 v54, v39, v62 :: v_dual_sub_f32 v33, v45, v49
	v_dual_sub_f32 v34, v22, v24 :: v_dual_sub_f32 v37, v24, v22
	v_sub_f32_e32 v22, v22, v28
	v_dual_add_f32 v48, v41, v53 :: v_dual_fmac_f32 v47, v31, v8
	v_sub_f32_e32 v32, v41, v53
	v_fma_f32 v29, v38, v61, -v54
	v_sub_f32_e32 v38, v26, v28
	v_dual_fmac_f32 v51, v35, v4 :: v_dual_add_f32 v40, v45, v49
	v_dual_add_f32 v31, v24, v26 :: v_dual_sub_f32 v44, v41, v45
	v_dual_sub_f32 v35, v28, v26 :: v_dual_sub_f32 v46, v53, v49
	v_dual_add_f32 v39, v21, v41 :: v_dual_add_f32 v52, v0, v23
	v_dual_sub_f32 v41, v45, v41 :: v_dual_sub_f32 v56, v43, v55
	v_dual_sub_f32 v50, v49, v53 :: v_dual_sub_f32 v57, v47, v51
	v_dual_add_f32 v73, v1, v43 :: v_dual_add_f32 v24, v30, v24
	v_add_f32_e32 v74, v47, v51
	v_dual_add_f32 v54, v25, v27 :: v_dual_add_f32 v69, v23, v29
	v_dual_sub_f32 v58, v23, v25 :: v_dual_sub_f32 v59, v29, v27
	v_dual_sub_f32 v71, v25, v23 :: v_dual_sub_f32 v72, v27, v29
	v_dual_sub_f32 v23, v23, v29 :: v_dual_add_f32 v30, v34, v35
	v_dual_sub_f32 v75, v25, v27 :: v_dual_add_f32 v34, v44, v46
	;; [unrolled: 1-line block ×3, first 2 shown]
	v_sub_f32_e32 v77, v55, v51
	v_dual_sub_f32 v79, v51, v55 :: v_dual_add_f32 v24, v24, v26
	v_fma_f32 v80, -0.5, v31, v20
	v_fma_f32 v35, -0.5, v36, v20
	v_add_f32_e32 v20, v37, v38
	v_add_f32_e32 v78, v43, v55
	v_sub_f32_e32 v43, v47, v43
	v_dual_add_f32 v31, v39, v45 :: v_dual_fmamk_f32 v46, v32, 0x3f737871, v80
	v_fma_f32 v38, -0.5, v40, v21
	v_fma_f32 v37, -0.5, v48, v21
	v_add_f32_e32 v21, v41, v50
	v_dual_add_f32 v41, v73, v47 :: v_dual_fmac_f32 v80, 0xbf737871, v32
	v_fma_f32 v44, -0.5, v74, v1
	v_fma_f32 v36, -0.5, v54, v0
	v_fmac_f32_e32 v0, -0.5, v69
	v_add_f32_e32 v45, v76, v77
	v_dual_fmac_f32 v1, -0.5, v78 :: v_dual_add_f32 v26, v31, v49
	v_dual_add_f32 v43, v43, v79 :: v_dual_fmamk_f32 v48, v22, 0xbf737871, v38
	v_fmamk_f32 v47, v33, 0xbf737871, v35
	v_dual_fmac_f32 v35, 0x3f737871, v33 :: v_dual_fmac_f32 v38, 0x3f737871, v22
	v_fmamk_f32 v49, v42, 0x3f737871, v37
	v_dual_fmac_f32 v37, 0xbf737871, v42 :: v_dual_fmamk_f32 v50, v23, 0xbf737871, v44
	v_dual_add_f32 v25, v25, v27 :: v_dual_add_f32 v24, v24, v28
	v_dual_add_f32 v41, v41, v51 :: v_dual_fmac_f32 v46, 0x3f167918, v33
	v_dual_fmamk_f32 v27, v56, 0x3f737871, v36 :: v_dual_add_f32 v26, v26, v53
	v_fmac_f32_e32 v36, 0xbf737871, v56
	v_fmamk_f32 v31, v57, 0xbf737871, v0
	v_fmac_f32_e32 v0, 0x3f737871, v57
	v_dual_fmac_f32 v44, 0x3f737871, v23 :: v_dual_fmamk_f32 v51, v75, 0x3f737871, v1
	v_fmac_f32_e32 v1, 0xbf737871, v75
	v_dual_fmac_f32 v47, 0x3f167918, v32 :: v_dual_fmac_f32 v38, 0x3f167918, v42
	v_fmac_f32_e32 v48, 0xbf167918, v42
	v_dual_fmac_f32 v49, 0xbf167918, v22 :: v_dual_fmac_f32 v36, 0xbf167918, v57
	v_dual_fmac_f32 v37, 0x3f167918, v22 :: v_dual_fmac_f32 v44, 0x3f167918, v75
	v_add_f32_e32 v22, v25, v29
	v_add_f32_e32 v25, v41, v55
	v_fmac_f32_e32 v50, 0xbf167918, v75
	v_dual_add_f32 v39, v58, v59 :: v_dual_add_f32 v40, v71, v72
	v_dual_fmac_f32 v80, 0xbf167918, v33 :: v_dual_fmac_f32 v35, 0xbf167918, v32
	v_fmac_f32_e32 v27, 0x3f167918, v57
	v_dual_fmac_f32 v0, 0xbf167918, v56 :: v_dual_fmac_f32 v51, 0xbf167918, v23
	v_dual_fmac_f32 v48, 0x3e9e377a, v34 :: v_dual_fmac_f32 v49, 0x3e9e377a, v21
	;; [unrolled: 1-line block ×3, first 2 shown]
	v_add_f32_e32 v21, v26, v25
	s_delay_alu instid0(VALU_DEP_4) | instskip(SKIP_3) | instid1(VALU_DEP_4)
	v_dual_fmac_f32 v50, 0x3e9e377a, v45 :: v_dual_fmac_f32 v51, 0x3e9e377a, v43
	v_dual_fmac_f32 v46, 0x3e9e377a, v30 :: v_dual_fmac_f32 v47, 0x3e9e377a, v20
	;; [unrolled: 1-line block ×3, first 2 shown]
	v_dual_add_f32 v20, v24, v22 :: v_dual_fmac_f32 v31, 0x3f167918, v56
	v_mul_f32_e32 v32, 0x3f167918, v50
	v_dual_sub_f32 v22, v24, v22 :: v_dual_fmac_f32 v27, 0x3e9e377a, v39
	v_fmac_f32_e32 v0, 0x3e9e377a, v40
	s_delay_alu instid0(VALU_DEP_4) | instskip(NEXT) | instid1(VALU_DEP_3)
	v_dual_fmac_f32 v36, 0x3e9e377a, v39 :: v_dual_fmac_f32 v31, 0x3e9e377a, v40
                                        ; implicit-def: $vgpr58
	v_fmac_f32_e32 v32, 0x3f4f1bbd, v27
	v_fmac_f32_e32 v1, 0x3f167918, v23
	v_fmac_f32_e32 v44, 0x3e9e377a, v45
	v_dual_sub_f32 v23, v26, v25 :: v_dual_mul_f32 v24, 0x3e9e377a, v0
	s_delay_alu instid0(VALU_DEP_3) | instskip(NEXT) | instid1(VALU_DEP_3)
	v_fmac_f32_e32 v1, 0x3e9e377a, v43
	v_mul_f32_e32 v28, 0x3f4f1bbd, v44
	s_delay_alu instid0(VALU_DEP_2) | instskip(NEXT) | instid1(VALU_DEP_4)
	v_mul_f32_e32 v26, 0x3e9e377a, v1
	v_fma_f32 v1, 0x3f737871, v1, -v24
	v_mul_f32_e32 v33, 0x3f737871, v51
	s_delay_alu instid0(VALU_DEP_4) | instskip(NEXT) | instid1(VALU_DEP_2)
	v_fma_f32 v43, 0xbf167918, v36, -v28
	v_dual_add_f32 v28, v35, v1 :: v_dual_fmac_f32 v33, 0x3e9e377a, v31
	v_mul_f32_e32 v25, 0x3f4f1bbd, v36
	v_fma_f32 v42, 0xbf737871, v0, -v26
	v_mul_f32_e32 v40, 0xbf737871, v31
	s_delay_alu instid0(VALU_DEP_4) | instskip(SKIP_4) | instid1(VALU_DEP_3)
	v_dual_add_f32 v31, v38, v43 :: v_dual_sub_f32 v34, v47, v33
	v_add_f32_e32 v26, v47, v33
	v_fma_f32 v41, 0x3f167918, v44, -v25
	v_mul_f32_e32 v39, 0xbf167918, v27
	v_dual_add_f32 v29, v37, v42 :: v_dual_fmac_f32 v40, 0x3e9e377a, v51
	v_dual_sub_f32 v37, v37, v42 :: v_dual_add_f32 v30, v80, v41
	s_delay_alu instid0(VALU_DEP_3) | instskip(NEXT) | instid1(VALU_DEP_3)
	v_dual_fmac_f32 v39, 0x3f4f1bbd, v50 :: v_dual_sub_f32 v36, v35, v1
	v_add_f32_e32 v27, v49, v40
	v_add_f32_e32 v24, v46, v32
	s_delay_alu instid0(VALU_DEP_3)
	v_dual_sub_f32 v32, v46, v32 :: v_dual_sub_f32 v33, v48, v39
	v_add_f32_e32 v25, v48, v39
	v_dual_sub_f32 v0, v80, v41 :: v_dual_sub_f32 v35, v49, v40
	v_sub_f32_e32 v1, v38, v43
	ds_store_2addr_b64 v70, v[20:21], v[24:25] offset1:11
	ds_store_2addr_b64 v70, v[26:27], v[28:29] offset0:22 offset1:33
	ds_store_2addr_b64 v70, v[30:31], v[22:23] offset0:44 offset1:55
	;; [unrolled: 1-line block ×4, first 2 shown]
	global_wb scope:SCOPE_SE
	s_wait_dscnt 0x0
	s_barrier_signal -1
	s_barrier_wait -1
	global_inv scope:SCOPE_SE
	ds_load_2addr_b64 v[44:47], v68 offset1:33
	ds_load_2addr_b64 v[40:43], v68 offset0:66 offset1:110
	ds_load_2addr_b64 v[36:39], v68 offset0:220 offset1:253
	;; [unrolled: 1-line block ×3, first 2 shown]
	ds_load_b64 v[52:53], v68 offset:2288
	s_and_saveexec_b32 s1, s0
	s_cbranch_execz .LBB0_9
; %bb.8:
	ds_load_2addr_b64 v[0:3], v68 offset0:99 offset1:209
	ds_load_b64 v[58:59], v68 offset:2552
.LBB0_9:
	s_wait_alu 0xfffe
	s_or_b32 exec_lo, exec_lo, s1
	v_lshlrev_b32_e32 v20, 4, v63
	v_lshl_add_u32 v69, v63, 3, v66
	v_add_nc_u32_e32 v71, v64, v66
	global_load_b128 v[28:31], v20, s[2:3] offset:792
	s_wait_loadcnt_dscnt 0x3
	v_mul_f32_e32 v55, v42, v29
	v_dual_mul_f32 v54, v43, v29 :: v_dual_add_nc_u32 v21, 0x210, v20
	s_wait_dscnt 0x2
	v_dual_mul_f32 v57, v36, v31 :: v_dual_add_nc_u32 v20, 0x420, v20
	s_clause 0x1
	global_load_b128 v[32:35], v21, s[2:3] offset:792
	global_load_b128 v[24:27], v20, s[2:3] offset:792
	v_add_co_u32 v20, s1, 0x63, v63
	s_wait_alu 0xf1ff
	v_add_co_ci_u32_e64 v21, null, 0, 0, s1
	v_add_co_u32 v22, s1, v63, -11
	s_wait_alu 0xf1ff
	v_add_co_ci_u32_e64 v23, null, 0, -1, s1
	v_mul_f32_e32 v56, v37, v31
	s_delay_alu instid0(VALU_DEP_3) | instskip(SKIP_1) | instid1(VALU_DEP_4)
	v_cndmask_b32_e64 v20, v22, v20, s0
	v_fma_f32 v42, v42, v28, -v54
	v_cndmask_b32_e64 v21, v23, v21, s0
	v_fmac_f32_e32 v55, v43, v28
	v_fma_f32 v36, v36, v30, -v56
	v_fmac_f32_e32 v57, v37, v30
	s_delay_alu instid0(VALU_DEP_4) | instskip(NEXT) | instid1(VALU_DEP_1)
	v_lshlrev_b64_e32 v[20:21], 4, v[20:21]
	v_add_co_u32 v20, s1, s2, v20
	s_wait_alu 0xf1ff
	s_delay_alu instid0(VALU_DEP_2)
	v_add_co_ci_u32_e64 v21, s1, s3, v21, s1
	global_load_b128 v[20:23], v[20:21], off offset:792
	s_wait_loadcnt_dscnt 0x201
	v_dual_mul_f32 v54, v39, v35 :: v_dual_mul_f32 v43, v48, v33
	s_wait_loadcnt_dscnt 0x100
	v_mul_f32_e32 v74, v53, v27
	v_dual_mul_f32 v56, v38, v35 :: v_dual_mul_f32 v37, v49, v33
	v_dual_mul_f32 v72, v51, v25 :: v_dual_mul_f32 v75, v52, v27
	v_mul_f32_e32 v73, v50, v25
	v_fma_f32 v38, v38, v34, -v54
	s_delay_alu instid0(VALU_DEP_4)
	v_fmac_f32_e32 v56, v39, v34
	v_fma_f32 v37, v48, v32, -v37
	v_dual_add_f32 v48, v44, v42 :: v_dual_fmac_f32 v43, v49, v32
	v_add_f32_e32 v49, v42, v36
	v_fma_f32 v39, v50, v24, -v72
	v_dual_fmac_f32 v73, v51, v24 :: v_dual_add_f32 v50, v45, v55
	v_fma_f32 v72, v52, v26, -v74
	v_dual_sub_f32 v51, v55, v57 :: v_dual_add_f32 v48, v48, v36
	v_fma_f32 v52, -0.5, v49, v44
	v_dual_fmac_f32 v75, v53, v26 :: v_dual_sub_f32 v42, v42, v36
	v_add_f32_e32 v53, v55, v57
	v_dual_add_f32 v49, v50, v57 :: v_dual_add_f32 v74, v39, v72
	v_add_f32_e32 v36, v46, v37
	v_dual_add_f32 v44, v37, v38 :: v_dual_add_f32 v55, v47, v43
	v_sub_f32_e32 v37, v37, v38
	v_dual_add_f32 v57, v40, v39 :: v_dual_fmamk_f32 v50, v51, 0x3f5db3d7, v52
	s_wait_loadcnt 0x0
	v_dual_add_f32 v77, v41, v73 :: v_dual_mul_f32 v80, v59, v23
	v_mul_f32_e32 v78, v3, v21
	v_dual_mul_f32 v79, v2, v21 :: v_dual_sub_f32 v76, v73, v75
	v_fma_f32 v53, -0.5, v53, v45
	v_dual_sub_f32 v45, v43, v56 :: v_dual_fmac_f32 v52, 0xbf5db3d7, v51
	v_add_f32_e32 v54, v36, v38
	v_fma_f32 v46, -0.5, v44, v46
	v_add_f32_e32 v43, v43, v56
	v_fma_f32 v40, -0.5, v74, v40
	v_mul_f32_e32 v81, v58, v23
	v_fma_f32 v2, v2, v20, -v78
	v_add_f32_e32 v55, v55, v56
	v_add_f32_e32 v56, v57, v72
	v_fmac_f32_e32 v79, v3, v20
	v_fma_f32 v3, v58, v22, -v80
	v_add_f32_e32 v73, v73, v75
	v_dual_sub_f32 v39, v39, v72 :: v_dual_fmamk_f32 v58, v76, 0x3f5db3d7, v40
	v_fmamk_f32 v44, v45, 0x3f5db3d7, v46
	v_dual_fmac_f32 v40, 0xbf5db3d7, v76 :: v_dual_fmac_f32 v81, v59, v22
	v_fmamk_f32 v51, v42, 0xbf5db3d7, v53
	v_dual_fmac_f32 v53, 0x3f5db3d7, v42 :: v_dual_add_f32 v36, v2, v3
	v_dual_fmac_f32 v47, -0.5, v43 :: v_dual_fmac_f32 v46, 0xbf5db3d7, v45
	s_delay_alu instid0(VALU_DEP_1) | instskip(SKIP_1) | instid1(VALU_DEP_4)
	v_fmamk_f32 v45, v37, 0xbf5db3d7, v47
	v_fmac_f32_e32 v47, 0x3f5db3d7, v37
	v_dual_add_f32 v37, v0, v2 :: v_dual_fmac_f32 v0, -0.5, v36
	v_dual_fmac_f32 v41, -0.5, v73 :: v_dual_sub_f32 v36, v2, v3
	s_delay_alu instid0(VALU_DEP_1) | instskip(SKIP_2) | instid1(VALU_DEP_1)
	v_dual_add_f32 v42, v37, v3 :: v_dual_fmamk_f32 v59, v39, 0xbf5db3d7, v41
	v_fmac_f32_e32 v41, 0x3f5db3d7, v39
	v_sub_f32_e32 v39, v79, v81
	v_dual_add_f32 v57, v77, v75 :: v_dual_fmamk_f32 v2, v39, 0x3f5db3d7, v0
	v_fmac_f32_e32 v0, 0xbf5db3d7, v39
	v_dual_add_f32 v38, v79, v81 :: v_dual_add_f32 v43, v1, v79
	ds_store_2addr_b64 v69, v[50:51], v[52:53] offset0:110 offset1:220
	ds_store_2addr_b64 v69, v[48:49], v[54:55] offset1:33
	ds_store_b64 v71, v[44:45] offset:1144
	ds_store_b64 v71, v[46:47] offset:2024
	ds_store_b64 v69, v[56:57] offset:528
	ds_store_b64 v71, v[58:59] offset:1408
	ds_store_b64 v71, v[40:41] offset:2288
	v_fmac_f32_e32 v1, -0.5, v38
	v_add_f32_e32 v43, v43, v81
	s_delay_alu instid0(VALU_DEP_2)
	v_fmamk_f32 v3, v36, 0xbf5db3d7, v1
	v_fmac_f32_e32 v1, 0x3f5db3d7, v36
	s_and_saveexec_b32 s1, s0
	s_cbranch_execz .LBB0_11
; %bb.10:
	ds_store_2addr_b64 v69, v[42:43], v[2:3] offset0:99 offset1:209
	ds_store_b64 v69, v[0:1] offset:2552
.LBB0_11:
	s_wait_alu 0xfffe
	s_or_b32 exec_lo, exec_lo, s1
	global_wb scope:SCOPE_SE
	s_wait_dscnt 0x0
	s_barrier_signal -1
	s_barrier_wait -1
	global_inv scope:SCOPE_SE
	s_and_saveexec_b32 s1, vcc_lo
	s_cbranch_execz .LBB0_13
; %bb.12:
	s_add_nc_u64 s[2:3], s[12:13], 0xa50
	s_clause 0xa
	global_load_b64 v[88:89], v64, s[12:13] offset:2640
	global_load_b64 v[90:91], v64, s[2:3] offset:240
	;; [unrolled: 1-line block ×11, first 2 shown]
	ds_load_2addr_b64 v[36:39], v69 offset1:30
	ds_load_2addr_b64 v[72:75], v69 offset0:60 offset1:90
	ds_load_2addr_b64 v[76:79], v69 offset0:120 offset1:150
	v_add_nc_u32_e32 v114, 0x400, v69
	s_wait_loadcnt_dscnt 0x902
	v_dual_mul_f32 v112, v37, v89 :: v_dual_mul_f32 v115, v39, v91
	ds_load_2addr_b64 v[80:83], v69 offset0:180 offset1:210
	ds_load_2addr_b64 v[84:87], v114 offset0:112 offset1:142
	ds_load_b64 v[110:111], v69 offset:2400
	v_mul_f32_e32 v113, v36, v89
	s_wait_loadcnt_dscnt 0x804
	v_dual_mul_f32 v89, v38, v91 :: v_dual_mul_f32 v116, v73, v93
	s_wait_loadcnt 0x7
	v_mul_f32_e32 v117, v75, v95
	v_mul_f32_e32 v91, v72, v93
	s_wait_loadcnt_dscnt 0x603
	v_dual_mul_f32 v93, v74, v95 :: v_dual_mul_f32 v118, v77, v97
	v_mul_f32_e32 v95, v76, v97
	s_wait_loadcnt 0x5
	v_mul_f32_e32 v119, v79, v99
	v_mul_f32_e32 v97, v78, v99
	v_fma_f32 v112, v36, v88, -v112
	v_fmac_f32_e32 v113, v37, v88
	v_fma_f32 v88, v38, v90, -v115
	v_fmac_f32_e32 v89, v39, v90
	;; [unrolled: 2-line block ×3, first 2 shown]
	v_fma_f32 v92, v74, v94, -v117
	s_wait_loadcnt_dscnt 0x402
	v_mul_f32_e32 v120, v81, v101
	s_wait_loadcnt_dscnt 0x201
	v_mul_f32_e32 v122, v85, v105
	v_mul_f32_e32 v99, v80, v101
	;; [unrolled: 1-line block ×3, first 2 shown]
	s_wait_loadcnt_dscnt 0x0
	v_dual_mul_f32 v101, v82, v103 :: v_dual_mul_f32 v124, v111, v109
	v_mul_f32_e32 v103, v84, v105
	v_mul_f32_e32 v123, v87, v107
	;; [unrolled: 1-line block ×4, first 2 shown]
	v_fmac_f32_e32 v93, v75, v94
	v_fma_f32 v94, v76, v96, -v118
	v_fmac_f32_e32 v95, v77, v96
	v_fma_f32 v96, v78, v98, -v119
	;; [unrolled: 2-line block ×7, first 2 shown]
	v_fmac_f32_e32 v107, v111, v108
	ds_store_2addr_b64 v69, v[112:113], v[88:89] offset1:30
	ds_store_2addr_b64 v69, v[90:91], v[92:93] offset0:60 offset1:90
	ds_store_2addr_b64 v69, v[94:95], v[96:97] offset0:120 offset1:150
	;; [unrolled: 1-line block ×4, first 2 shown]
	ds_store_b64 v69, v[106:107] offset:2400
.LBB0_13:
	s_wait_alu 0xfffe
	s_or_b32 exec_lo, exec_lo, s1
	global_wb scope:SCOPE_SE
	s_wait_dscnt 0x0
	s_barrier_signal -1
	s_barrier_wait -1
	global_inv scope:SCOPE_SE
	s_and_saveexec_b32 s1, vcc_lo
	s_cbranch_execz .LBB0_15
; %bb.14:
	v_add_nc_u32_e32 v2, 0x400, v69
	ds_load_2addr_b64 v[48:51], v69 offset1:30
	ds_load_2addr_b64 v[52:55], v69 offset0:60 offset1:90
	ds_load_2addr_b64 v[44:47], v69 offset0:120 offset1:150
	ds_load_2addr_b64 v[56:59], v69 offset0:180 offset1:210
	ds_load_2addr_b64 v[40:43], v2 offset0:112 offset1:142
	ds_load_b64 v[2:3], v69 offset:2400
.LBB0_15:
	s_wait_alu 0xfffe
	s_or_b32 exec_lo, exec_lo, s1
	s_wait_dscnt 0x0
	v_dual_sub_f32 v90, v51, v3 :: v_dual_sub_f32 v73, v50, v2
	v_dual_add_f32 v93, v3, v51 :: v_dual_add_f32 v36, v2, v50
	v_dual_add_f32 v37, v42, v52 :: v_dual_add_f32 v96, v43, v53
	s_delay_alu instid0(VALU_DEP_3) | instskip(NEXT) | instid1(VALU_DEP_3)
	v_dual_mul_f32 v80, 0xbf0a6770, v90 :: v_dual_sub_f32 v91, v53, v43
	v_dual_mul_f32 v87, 0x3f575c64, v93 :: v_dual_sub_f32 v72, v52, v42
	v_sub_f32_e32 v92, v55, v41
	s_delay_alu instid0(VALU_DEP_3) | instskip(NEXT) | instid1(VALU_DEP_4)
	v_fma_f32 v38, 0x3f575c64, v36, -v80
	v_mul_f32_e32 v81, 0xbf68dda4, v91
	s_delay_alu instid0(VALU_DEP_4) | instskip(SKIP_1) | instid1(VALU_DEP_4)
	v_fmamk_f32 v39, v73, 0xbf0a6770, v87
	v_dual_add_f32 v95, v41, v55 :: v_dual_add_f32 v74, v40, v54
	v_add_f32_e32 v38, v48, v38
	s_delay_alu instid0(VALU_DEP_3) | instskip(SKIP_3) | instid1(VALU_DEP_4)
	v_dual_mul_f32 v84, 0x3ed4b147, v96 :: v_dual_add_f32 v39, v49, v39
	v_fma_f32 v76, 0x3ed4b147, v37, -v81
	v_sub_f32_e32 v75, v54, v40
	v_dual_mul_f32 v85, 0xbe11bafb, v95 :: v_dual_add_f32 v98, v59, v45
	v_dual_fmamk_f32 v77, v72, 0xbf68dda4, v84 :: v_dual_sub_f32 v94, v45, v59
	v_mul_f32_e32 v82, 0xbf7d64f0, v92
	v_add_f32_e32 v38, v76, v38
	s_delay_alu instid0(VALU_DEP_3) | instskip(NEXT) | instid1(VALU_DEP_4)
	v_dual_fmamk_f32 v78, v75, 0xbf7d64f0, v85 :: v_dual_add_f32 v39, v77, v39
	v_dual_add_f32 v76, v58, v44 :: v_dual_mul_f32 v83, 0xbf4178ce, v94
	s_delay_alu instid0(VALU_DEP_4) | instskip(SKIP_2) | instid1(VALU_DEP_4)
	v_fma_f32 v77, 0xbe11bafb, v74, -v82
	v_dual_mul_f32 v88, 0xbf27a4f4, v98 :: v_dual_sub_f32 v97, v47, v57
	v_add_f32_e32 v99, v57, v47
	v_fma_f32 v100, 0xbf27a4f4, v76, -v83
	s_delay_alu instid0(VALU_DEP_4) | instskip(SKIP_3) | instid1(VALU_DEP_3)
	v_add_f32_e32 v38, v77, v38
	v_sub_f32_e32 v77, v44, v58
	v_dual_add_f32 v39, v78, v39 :: v_dual_add_f32 v78, v56, v46
	v_dual_sub_f32 v79, v46, v56 :: v_dual_mul_f32 v86, 0xbe903f40, v97
	v_dual_fmamk_f32 v101, v77, 0xbf4178ce, v88 :: v_dual_add_f32 v38, v100, v38
	global_wb scope:SCOPE_SE
	s_barrier_signal -1
	v_fma_f32 v100, 0xbf75a155, v78, -v86
	v_mul_f32_e32 v89, 0xbf75a155, v99
	v_add_f32_e32 v39, v101, v39
	s_barrier_wait -1
	global_inv scope:SCOPE_SE
	v_dual_add_f32 v38, v100, v38 :: v_dual_fmamk_f32 v101, v79, 0xbe903f40, v89
	s_delay_alu instid0(VALU_DEP_1)
	v_add_f32_e32 v39, v101, v39
	s_and_saveexec_b32 s1, vcc_lo
	s_cbranch_execz .LBB0_17
; %bb.16:
	v_dual_mul_f32 v114, 0xbe903f40, v90 :: v_dual_mul_f32 v123, 0xbe903f40, v79
	v_mul_f32_e32 v106, 0xbf75a155, v93
	v_mul_f32_e32 v117, 0x3f0a6770, v91
	;; [unrolled: 1-line block ×3, first 2 shown]
	s_delay_alu instid0(VALU_DEP_4) | instskip(NEXT) | instid1(VALU_DEP_3)
	v_dual_fmamk_f32 v102, v36, 0xbf75a155, v114 :: v_dual_mul_f32 v131, 0xbf75a155, v98
	v_dual_mul_f32 v104, 0x3f575c64, v36 :: v_dual_fmamk_f32 v103, v37, 0x3f575c64, v117
	s_delay_alu instid0(VALU_DEP_2)
	v_dual_mul_f32 v111, 0x3f575c64, v96 :: v_dual_add_f32 v102, v48, v102
	v_mul_f32_e32 v119, 0xbf4178ce, v92
	v_fmamk_f32 v129, v36, 0xbf27a4f4, v126
	v_fmamk_f32 v100, v73, 0x3e903f40, v106
	v_dual_mul_f32 v112, 0xbf27a4f4, v76 :: v_dual_mul_f32 v115, 0xbf27a4f4, v95
	v_dual_mul_f32 v113, 0xbf4178ce, v77 :: v_dual_add_f32 v102, v103, v102
	v_dual_fmamk_f32 v103, v74, 0xbf27a4f4, v119 :: v_dual_mul_f32 v122, 0xbf27a4f4, v93
	v_fmamk_f32 v101, v72, 0xbf0a6770, v111
	v_add_f32_e32 v129, v48, v129
	v_dual_mul_f32 v105, 0xbf0a6770, v73 :: v_dual_add_f32 v100, v49, v100
	v_mul_f32_e32 v121, 0x3f68dda4, v94
	v_mul_f32_e32 v118, 0x3ed4b147, v98
	v_dual_add_f32 v102, v103, v102 :: v_dual_mul_f32 v107, 0x3ed4b147, v37
	s_delay_alu instid0(VALU_DEP_4) | instskip(SKIP_3) | instid1(VALU_DEP_4)
	v_dual_add_f32 v100, v101, v100 :: v_dual_fmamk_f32 v101, v75, 0x3f4178ce, v115
	v_dual_mul_f32 v109, 0xbe11bafb, v74 :: v_dual_mul_f32 v120, 0xbe11bafb, v99
	v_fmamk_f32 v103, v76, 0x3ed4b147, v121
	v_mul_f32_e32 v108, 0xbf68dda4, v72
	v_add_f32_e32 v100, v101, v100
	v_fmamk_f32 v101, v77, 0xbf68dda4, v118
	v_dual_mul_f32 v124, 0xbe11bafb, v96 :: v_dual_mul_f32 v137, 0xbe11bafb, v93
	v_mul_f32_e32 v130, 0x3f7d64f0, v91
	v_add_f32_e32 v102, v103, v102
	s_delay_alu instid0(VALU_DEP_4) | instskip(NEXT) | instid1(VALU_DEP_4)
	v_dual_add_f32 v100, v101, v100 :: v_dual_fmamk_f32 v101, v79, 0x3f7d64f0, v120
	v_dual_fmamk_f32 v103, v72, 0xbf7d64f0, v124 :: v_dual_mul_f32 v110, 0xbf7d64f0, v75
	v_mul_f32_e32 v125, 0xbf7d64f0, v97
	s_delay_alu instid0(VALU_DEP_3) | instskip(SKIP_4) | instid1(VALU_DEP_4)
	v_dual_mul_f32 v134, 0x3ed4b147, v99 :: v_dual_add_f32 v101, v101, v100
	v_fmamk_f32 v100, v73, 0x3f4178ce, v122
	v_mul_f32_e32 v146, 0xbf27a4f4, v99
	v_dual_mul_f32 v150, 0xbf4178ce, v91 :: v_dual_sub_f32 v87, v87, v105
	v_mul_f32_e32 v142, 0x3e903f40, v91
	v_dual_add_f32 v100, v49, v100 :: v_dual_mul_f32 v127, 0x3f575c64, v95
	s_delay_alu instid0(VALU_DEP_3) | instskip(NEXT) | instid1(VALU_DEP_3)
	v_dual_fmamk_f32 v148, v79, 0x3f4178ce, v146 :: v_dual_add_f32 v87, v49, v87
	v_fmamk_f32 v144, v37, 0xbf75a155, v142
	s_delay_alu instid0(VALU_DEP_3) | instskip(NEXT) | instid1(VALU_DEP_4)
	v_add_f32_e32 v100, v103, v100
	v_fmamk_f32 v103, v75, 0x3f0a6770, v127
	v_fmamk_f32 v136, v79, 0xbf68dda4, v134
	v_mul_f32_e32 v145, 0x3f68dda4, v92
	v_dual_mul_f32 v139, 0x3ed4b147, v95 :: v_dual_add_f32 v50, v50, v48
	s_delay_alu instid0(VALU_DEP_4)
	v_dual_add_f32 v100, v103, v100 :: v_dual_fmamk_f32 v103, v77, 0x3e903f40, v131
	v_fmac_f32_e32 v106, 0xbe903f40, v73
	v_mul_f32_e32 v149, 0x3ed4b147, v93
	v_mul_f32_e32 v143, 0x3f575c64, v98
	;; [unrolled: 1-line block ×3, first 2 shown]
	v_dual_add_f32 v103, v103, v100 :: v_dual_fmamk_f32 v128, v78, 0xbe11bafb, v125
	v_mul_f32_e32 v99, 0x3f575c64, v99
	v_mul_f32_e32 v151, 0x3e903f40, v92
	s_delay_alu instid0(VALU_DEP_4) | instskip(NEXT) | instid1(VALU_DEP_4)
	v_fmamk_f32 v91, v75, 0xbe903f40, v95
	v_add_f32_e32 v103, v136, v103
	v_add_f32_e32 v100, v128, v102
	v_mul_f32_e32 v128, 0xbf75a155, v96
	v_mul_f32_e32 v136, 0xbf7d64f0, v90
	;; [unrolled: 1-line block ×3, first 2 shown]
	v_dual_mul_f32 v96, 0xbf27a4f4, v96 :: v_dual_add_f32 v51, v51, v49
	s_delay_alu instid0(VALU_DEP_4) | instskip(NEXT) | instid1(VALU_DEP_4)
	v_fmamk_f32 v138, v72, 0xbe903f40, v128
	v_fmamk_f32 v141, v36, 0xbe11bafb, v136
	;; [unrolled: 1-line block ×3, first 2 shown]
	v_fmac_f32_e32 v111, 0x3f0a6770, v72
	v_dual_add_f32 v51, v53, v51 :: v_dual_mul_f32 v98, 0xbe11bafb, v98
	s_delay_alu instid0(VALU_DEP_4) | instskip(NEXT) | instid1(VALU_DEP_4)
	v_dual_add_f32 v141, v48, v141 :: v_dual_mul_f32 v116, 0xbf75a155, v78
	v_add_f32_e32 v129, v132, v129
	v_add_f32_e32 v53, v104, v80
	s_delay_alu instid0(VALU_DEP_4) | instskip(NEXT) | instid1(VALU_DEP_4)
	v_add_f32_e32 v51, v55, v51
	v_dual_add_f32 v141, v144, v141 :: v_dual_fmamk_f32 v144, v74, 0x3ed4b147, v145
	s_delay_alu instid0(VALU_DEP_3) | instskip(NEXT) | instid1(VALU_DEP_3)
	v_dual_fmamk_f32 v102, v73, 0x3f7d64f0, v137 :: v_dual_add_f32 v53, v48, v53
	v_dual_add_f32 v45, v45, v51 :: v_dual_sub_f32 v84, v84, v108
	s_delay_alu instid0(VALU_DEP_3) | instskip(NEXT) | instid1(VALU_DEP_3)
	v_add_f32_e32 v141, v144, v141
	v_dual_mul_f32 v133, 0xbf0a6770, v92 :: v_dual_add_f32 v102, v49, v102
	v_add_f32_e32 v55, v107, v81
	s_delay_alu instid0(VALU_DEP_4) | instskip(NEXT) | instid1(VALU_DEP_3)
	v_dual_add_f32 v45, v47, v45 :: v_dual_add_f32 v80, v84, v87
	v_fmamk_f32 v132, v74, 0x3f575c64, v133
	s_delay_alu instid0(VALU_DEP_4) | instskip(SKIP_2) | instid1(VALU_DEP_4)
	v_add_f32_e32 v102, v138, v102
	v_add_f32_e32 v47, v109, v82
	;; [unrolled: 1-line block ×3, first 2 shown]
	v_dual_sub_f32 v52, v85, v110 :: v_dual_add_f32 v129, v132, v129
	v_dual_fmamk_f32 v132, v76, 0xbf75a155, v135 :: v_dual_add_f32 v53, v55, v53
	s_delay_alu instid0(VALU_DEP_2) | instskip(SKIP_1) | instid1(VALU_DEP_3)
	v_dual_add_f32 v50, v54, v50 :: v_dual_add_f32 v51, v52, v80
	v_sub_f32_e32 v52, v88, v113
	v_add_f32_e32 v129, v132, v129
	v_mul_f32_e32 v132, 0x3f68dda4, v97
	v_fmac_f32_e32 v134, 0x3f68dda4, v79
	v_fmac_f32_e32 v122, 0xbf4178ce, v73
	v_add_f32_e32 v44, v44, v50
	v_add_f32_e32 v50, v52, v51
	v_fmamk_f32 v140, v78, 0x3ed4b147, v132
	v_fmamk_f32 v138, v75, 0xbf68dda4, v139
	v_mul_f32_e32 v147, 0xbf0a6770, v94
	v_dual_mul_f32 v94, 0x3f7d64f0, v94 :: v_dual_sub_f32 v51, v89, v123
	v_add_f32_e32 v52, v57, v45
	s_delay_alu instid0(VALU_DEP_4) | instskip(SKIP_4) | instid1(VALU_DEP_4)
	v_add_f32_e32 v102, v138, v102
	v_fmamk_f32 v138, v77, 0x3f0a6770, v143
	v_dual_fmac_f32 v118, 0x3f68dda4, v77 :: v_dual_fmac_f32 v139, 0x3f68dda4, v75
	v_add_f32_e32 v45, v51, v50
	v_dual_add_f32 v50, v59, v52 :: v_dual_fmac_f32 v127, 0xbf0a6770, v75
	v_add_f32_e32 v138, v138, v102
	v_add_f32_e32 v102, v140, v129
	v_fmamk_f32 v144, v76, 0x3f575c64, v147
	v_fmamk_f32 v129, v73, 0x3f68dda4, v149
	s_delay_alu instid0(VALU_DEP_4) | instskip(SKIP_1) | instid1(VALU_DEP_4)
	v_dual_mul_f32 v140, 0xbf4178ce, v97 :: v_dual_add_f32 v93, v148, v138
	v_mul_f32_e32 v97, 0x3f0a6770, v97
	v_dual_add_f32 v138, v144, v141 :: v_dual_mul_f32 v141, 0xbf68dda4, v90
	s_delay_alu instid0(VALU_DEP_4) | instskip(NEXT) | instid1(VALU_DEP_4)
	v_dual_add_f32 v90, v49, v129 :: v_dual_fmamk_f32 v129, v72, 0x3f4178ce, v96
	v_fmamk_f32 v144, v78, 0xbf27a4f4, v140
	s_delay_alu instid0(VALU_DEP_4) | instskip(NEXT) | instid1(VALU_DEP_4)
	v_fmamk_f32 v105, v78, 0x3f575c64, v97
	v_dual_fmamk_f32 v148, v36, 0x3ed4b147, v141 :: v_dual_add_f32 v51, v49, v106
	s_delay_alu instid0(VALU_DEP_4) | instskip(NEXT) | instid1(VALU_DEP_4)
	v_add_f32_e32 v90, v129, v90
	v_add_f32_e32 v92, v144, v138
	v_fmamk_f32 v138, v76, 0xbe11bafb, v94
	s_delay_alu instid0(VALU_DEP_4) | instskip(NEXT) | instid1(VALU_DEP_4)
	v_dual_add_f32 v129, v48, v148 :: v_dual_fmamk_f32 v148, v37, 0xbf27a4f4, v150
	v_dual_add_f32 v90, v91, v90 :: v_dual_fmamk_f32 v91, v77, 0xbf7d64f0, v98
	v_fmac_f32_e32 v149, 0xbf68dda4, v73
	s_delay_alu instid0(VALU_DEP_3) | instskip(SKIP_1) | instid1(VALU_DEP_4)
	v_dual_fmac_f32 v120, 0xbf7d64f0, v79 :: v_dual_add_f32 v129, v148, v129
	v_fmamk_f32 v148, v74, 0xbf75a155, v151
	v_add_f32_e32 v90, v91, v90
	v_fmamk_f32 v91, v79, 0xbf0a6770, v99
	v_add_f32_e32 v41, v41, v50
	v_fma_f32 v52, 0xbf75a155, v37, -v142
	v_add_f32_e32 v129, v148, v129
	v_fmac_f32_e32 v115, 0xbf4178ce, v75
	v_add_f32_e32 v91, v91, v90
	v_add_f32_e32 v41, v43, v41
	s_delay_alu instid0(VALU_DEP_4) | instskip(SKIP_1) | instid1(VALU_DEP_3)
	v_dual_add_f32 v43, v111, v51 :: v_dual_add_f32 v90, v138, v129
	v_add_f32_e32 v44, v46, v44
	v_dual_fmac_f32 v146, 0xbf4178ce, v79 :: v_dual_add_f32 v3, v3, v41
	s_delay_alu instid0(VALU_DEP_3) | instskip(NEXT) | instid1(VALU_DEP_3)
	v_dual_add_f32 v41, v115, v43 :: v_dual_fmac_f32 v128, 0x3e903f40, v72
	v_dual_add_f32 v44, v56, v44 :: v_dual_fmac_f32 v137, 0xbf7d64f0, v73
	v_add_f32_e32 v90, v105, v90
	v_fma_f32 v43, 0xbf27a4f4, v74, -v119
	v_fmac_f32_e32 v96, 0xbf4178ce, v72
	s_delay_alu instid0(VALU_DEP_4) | instskip(SKIP_3) | instid1(VALU_DEP_4)
	v_add_f32_e32 v50, v58, v44
	v_fmac_f32_e32 v98, 0x3f7d64f0, v77
	v_fmac_f32_e32 v131, 0xbe903f40, v77
	;; [unrolled: 1-line block ×3, first 2 shown]
	v_dual_fmac_f32 v95, 0x3e903f40, v75 :: v_dual_add_f32 v40, v40, v50
	v_fma_f32 v50, 0xbe11bafb, v37, -v130
	s_delay_alu instid0(VALU_DEP_2) | instskip(NEXT) | instid1(VALU_DEP_1)
	v_dual_fmac_f32 v99, 0x3f0a6770, v79 :: v_dual_add_f32 v40, v42, v40
	v_add_f32_e32 v2, v2, v40
	v_add_f32_e32 v40, v118, v41
	v_dual_add_f32 v46, v47, v53 :: v_dual_add_f32 v47, v112, v83
	s_delay_alu instid0(VALU_DEP_2) | instskip(SKIP_1) | instid1(VALU_DEP_3)
	v_add_f32_e32 v41, v120, v40
	v_fma_f32 v40, 0xbf27a4f4, v36, -v126
	v_add_f32_e32 v46, v47, v46
	v_add_f32_e32 v47, v116, v86
	s_delay_alu instid0(VALU_DEP_1) | instskip(SKIP_3) | instid1(VALU_DEP_3)
	v_add_f32_e32 v44, v47, v46
	v_fma_f32 v46, 0xbf75a155, v36, -v114
	v_fma_f32 v47, 0x3f575c64, v37, -v117
	;; [unrolled: 1-line block ×3, first 2 shown]
	v_add_f32_e32 v46, v48, v46
	s_delay_alu instid0(VALU_DEP_1) | instskip(SKIP_1) | instid1(VALU_DEP_2)
	v_dual_add_f32 v42, v47, v46 :: v_dual_add_f32 v47, v48, v40
	v_add_f32_e32 v46, v49, v122
	v_add_f32_e32 v42, v43, v42
	v_fma_f32 v43, 0x3ed4b147, v76, -v121
	s_delay_alu instid0(VALU_DEP_1) | instskip(SKIP_1) | instid1(VALU_DEP_1)
	v_add_f32_e32 v42, v43, v42
	v_fma_f32 v43, 0xbe11bafb, v78, -v125
	v_dual_add_f32 v40, v43, v42 :: v_dual_add_f32 v43, v50, v47
	v_add_f32_e32 v47, v49, v137
	v_dual_add_f32 v49, v49, v149 :: v_dual_fmac_f32 v124, 0x3f7d64f0, v72
	v_fma_f32 v50, 0xbf75a155, v76, -v135
	s_delay_alu instid0(VALU_DEP_3) | instskip(NEXT) | instid1(VALU_DEP_3)
	v_add_f32_e32 v47, v128, v47
	v_add_f32_e32 v49, v96, v49
	s_delay_alu instid0(VALU_DEP_2) | instskip(NEXT) | instid1(VALU_DEP_1)
	v_dual_add_f32 v46, v124, v46 :: v_dual_add_f32 v47, v139, v47
	v_add_f32_e32 v42, v127, v46
	v_fma_f32 v46, 0x3f575c64, v74, -v133
	s_delay_alu instid0(VALU_DEP_2) | instskip(NEXT) | instid1(VALU_DEP_2)
	v_add_f32_e32 v42, v131, v42
	v_add_f32_e32 v46, v46, v43
	s_delay_alu instid0(VALU_DEP_2) | instskip(SKIP_1) | instid1(VALU_DEP_3)
	v_add_f32_e32 v43, v134, v42
	v_fma_f32 v42, 0xbe11bafb, v36, -v136
	v_add_f32_e32 v46, v50, v46
	v_fma_f32 v50, 0x3ed4b147, v78, -v132
	v_fma_f32 v36, 0x3ed4b147, v36, -v141
	s_delay_alu instid0(VALU_DEP_4) | instskip(NEXT) | instid1(VALU_DEP_3)
	v_add_f32_e32 v51, v48, v42
	v_add_f32_e32 v42, v50, v46
	;; [unrolled: 1-line block ×3, first 2 shown]
	v_fma_f32 v50, 0x3ed4b147, v74, -v145
	s_delay_alu instid0(VALU_DEP_4) | instskip(SKIP_3) | instid1(VALU_DEP_3)
	v_add_f32_e32 v47, v52, v51
	v_add_f32_e32 v36, v48, v36
	v_fma_f32 v48, 0x3f575c64, v76, -v147
	v_fma_f32 v52, 0x3f575c64, v78, -v97
	v_dual_add_f32 v47, v50, v47 :: v_dual_add_f32 v36, v37, v36
	v_fma_f32 v37, 0xbf75a155, v74, -v151
	v_and_b32_e32 v50, 0xffff, v67
	s_delay_alu instid0(VALU_DEP_3) | instskip(NEXT) | instid1(VALU_DEP_3)
	v_dual_add_f32 v47, v48, v47 :: v_dual_add_f32 v48, v95, v49
	v_add_f32_e32 v36, v37, v36
	v_fma_f32 v37, 0xbe11bafb, v76, -v94
	v_fma_f32 v49, 0xbf27a4f4, v78, -v140
	v_lshl_add_u32 v50, v50, 3, v66
	v_add_f32_e32 v48, v98, v48
	s_delay_alu instid0(VALU_DEP_4) | instskip(NEXT) | instid1(VALU_DEP_4)
	v_add_f32_e32 v51, v37, v36
	v_dual_add_f32 v37, v146, v46 :: v_dual_add_f32 v36, v49, v47
	s_delay_alu instid0(VALU_DEP_2)
	v_dual_add_f32 v47, v99, v48 :: v_dual_add_f32 v46, v52, v51
	ds_store_2addr_b64 v50, v[2:3], v[44:45] offset1:1
	ds_store_2addr_b64 v50, v[90:91], v[92:93] offset0:2 offset1:3
	ds_store_2addr_b64 v50, v[102:103], v[100:101] offset0:4 offset1:5
	;; [unrolled: 1-line block ×4, first 2 shown]
	ds_store_b64 v50, v[38:39] offset:80
.LBB0_17:
	s_wait_alu 0xfffe
	s_or_b32 exec_lo, exec_lo, s1
	global_wb scope:SCOPE_SE
	s_wait_dscnt 0x0
	s_barrier_signal -1
	s_barrier_wait -1
	global_inv scope:SCOPE_SE
	ds_load_2addr_b64 v[40:43], v68 offset1:33
	ds_load_2addr_b64 v[44:47], v68 offset0:66 offset1:99
	ds_load_2addr_b64 v[48:51], v68 offset0:132 offset1:165
	s_wait_dscnt 0x2
	v_dual_mul_f32 v3, v17, v43 :: v_dual_add_nc_u32 v2, 0x800, v68
	ds_load_2addr_b64 v[52:55], v68 offset0:198 offset1:231
	ds_load_2addr_b64 v[56:59], v2 offset0:8 offset1:41
	s_wait_dscnt 0x3
	v_dual_mul_f32 v2, v17, v42 :: v_dual_mul_f32 v17, v19, v45
	v_dual_mul_f32 v19, v19, v44 :: v_dual_mul_f32 v36, v13, v47
	v_mul_f32_e32 v13, v13, v46
	s_wait_dscnt 0x2
	v_dual_mul_f32 v37, v15, v49 :: v_dual_mul_f32 v66, v9, v51
	s_delay_alu instid0(VALU_DEP_3) | instskip(SKIP_1) | instid1(VALU_DEP_3)
	v_dual_mul_f32 v15, v15, v48 :: v_dual_fmac_f32 v36, v12, v46
	v_mul_f32_e32 v9, v9, v50
	v_dual_fmac_f32 v17, v18, v44 :: v_dual_fmac_f32 v66, v8, v50
	v_fma_f32 v12, v12, v47, -v13
	v_fmac_f32_e32 v37, v14, v48
	v_fma_f32 v13, v14, v49, -v15
	global_wb scope:SCOPE_SE
	s_wait_dscnt 0x0
	s_barrier_signal -1
	s_barrier_wait -1
	v_dual_mul_f32 v14, v11, v53 :: v_dual_fmac_f32 v3, v16, v42
	v_fma_f32 v16, v16, v43, -v2
	v_fma_f32 v2, v18, v45, -v19
	v_mul_f32_e32 v18, v62, v59
	s_delay_alu instid0(VALU_DEP_4)
	v_fmac_f32_e32 v14, v10, v52
	v_fma_f32 v8, v8, v51, -v9
	v_dual_mul_f32 v9, v7, v56 :: v_dual_mul_f32 v46, v62, v58
	v_mul_f32_e32 v7, v7, v57
	v_mul_f32_e32 v11, v11, v52
	v_dual_add_f32 v19, v40, v17 :: v_dual_add_f32 v48, v41, v2
	s_delay_alu instid0(VALU_DEP_4) | instskip(NEXT) | instid1(VALU_DEP_4)
	v_fma_f32 v9, v6, v57, -v9
	v_fmac_f32_e32 v7, v6, v56
	s_delay_alu instid0(VALU_DEP_4) | instskip(SKIP_2) | instid1(VALU_DEP_4)
	v_fma_f32 v10, v10, v53, -v11
	v_fmac_f32_e32 v18, v61, v58
	v_add_f32_e32 v11, v37, v14
	v_dual_mul_f32 v15, v5, v55 :: v_dual_sub_f32 v44, v7, v14
	v_add_f32_e32 v45, v17, v7
	v_sub_f32_e32 v6, v13, v10
	s_delay_alu instid0(VALU_DEP_4)
	v_fma_f32 v42, -0.5, v11, v40
	global_inv scope:SCOPE_SE
	v_fma_f32 v40, -0.5, v45, v40
	v_mul_f32_e32 v5, v5, v54
	v_sub_f32_e32 v11, v2, v9
	v_sub_f32_e32 v43, v17, v37
	s_delay_alu instid0(VALU_DEP_1)
	v_add_f32_e32 v43, v43, v44
	v_fma_f32 v44, v61, v59, -v46
	v_fmamk_f32 v46, v6, 0x3f737871, v40
	v_fmac_f32_e32 v40, 0xbf737871, v6
	v_fmac_f32_e32 v15, v4, v54
	v_fma_f32 v4, v4, v55, -v5
	v_add_f32_e32 v5, v19, v37
	v_fmamk_f32 v19, v11, 0xbf737871, v42
	v_dual_fmac_f32 v42, 0x3f737871, v11 :: v_dual_add_f32 v49, v13, v10
	v_fmac_f32_e32 v46, 0xbf167918, v11
	v_sub_f32_e32 v47, v14, v7
	s_delay_alu instid0(VALU_DEP_4) | instskip(NEXT) | instid1(VALU_DEP_4)
	v_fmac_f32_e32 v19, 0xbf167918, v6
	v_fmac_f32_e32 v42, 0x3f167918, v6
	v_add_f32_e32 v6, v48, v13
	v_dual_fmac_f32 v40, 0x3f167918, v11 :: v_dual_add_f32 v11, v2, v9
	s_delay_alu instid0(VALU_DEP_3) | instskip(NEXT) | instid1(VALU_DEP_3)
	v_fmac_f32_e32 v42, 0x3e9e377a, v43
	v_add_f32_e32 v6, v6, v10
	v_add_f32_e32 v5, v5, v14
	v_sub_f32_e32 v14, v37, v14
	s_delay_alu instid0(VALU_DEP_2)
	v_dual_add_f32 v48, v6, v9 :: v_dual_add_f32 v45, v5, v7
	v_dual_sub_f32 v6, v10, v9 :: v_dual_fmac_f32 v19, 0x3e9e377a, v43
	v_sub_f32_e32 v5, v37, v17
	v_sub_f32_e32 v37, v2, v13
	;; [unrolled: 1-line block ×3, first 2 shown]
	v_dual_sub_f32 v2, v13, v2 :: v_dual_add_f32 v9, v3, v36
	v_sub_f32_e32 v7, v17, v7
	v_sub_f32_e32 v10, v18, v15
	s_delay_alu instid0(VALU_DEP_3) | instskip(NEXT) | instid1(VALU_DEP_4)
	v_add_f32_e32 v2, v2, v6
	v_add_f32_e32 v6, v9, v66
	;; [unrolled: 1-line block ×3, first 2 shown]
	v_fma_f32 v47, -0.5, v49, v41
	v_fma_f32 v41, -0.5, v11, v41
	s_delay_alu instid0(VALU_DEP_3) | instskip(NEXT) | instid1(VALU_DEP_3)
	v_dual_add_f32 v9, v66, v15 :: v_dual_fmac_f32 v46, 0x3e9e377a, v5
	v_fmamk_f32 v17, v7, 0x3f737871, v47
	v_fmac_f32_e32 v47, 0xbf737871, v7
	v_dual_fmac_f32 v40, 0x3e9e377a, v5 :: v_dual_add_f32 v5, v37, v43
	v_sub_f32_e32 v43, v15, v18
	s_delay_alu instid0(VALU_DEP_4) | instskip(NEXT) | instid1(VALU_DEP_4)
	v_fmac_f32_e32 v17, 0x3f167918, v14
	v_fmac_f32_e32 v47, 0xbf167918, v14
	v_fmamk_f32 v37, v14, 0xbf737871, v41
	v_dual_fmac_f32 v41, 0x3f737871, v14 :: v_dual_sub_f32 v14, v66, v36
	s_delay_alu instid0(VALU_DEP_4) | instskip(NEXT) | instid1(VALU_DEP_4)
	v_fmac_f32_e32 v17, 0x3e9e377a, v5
	v_fmac_f32_e32 v47, 0x3e9e377a, v5
	v_dual_add_f32 v5, v6, v15 :: v_dual_add_f32 v6, v36, v18
	v_fmac_f32_e32 v37, 0x3f167918, v7
	v_fmac_f32_e32 v41, 0xbf167918, v7
	v_fma_f32 v7, -0.5, v9, v3
	v_sub_f32_e32 v15, v66, v15
	v_sub_f32_e32 v9, v12, v44
	v_fmac_f32_e32 v3, -0.5, v6
	v_sub_f32_e32 v6, v36, v66
	v_add_f32_e32 v13, v5, v18
	s_delay_alu instid0(VALU_DEP_4) | instskip(NEXT) | instid1(VALU_DEP_3)
	v_fmamk_f32 v5, v9, 0xbf737871, v7
	v_dual_fmac_f32 v7, 0x3f737871, v9 :: v_dual_add_f32 v6, v6, v10
	v_add_f32_e32 v10, v14, v43
	v_dual_add_f32 v14, v16, v12 :: v_dual_fmac_f32 v41, 0x3e9e377a, v2
	v_sub_f32_e32 v43, v4, v44
	v_dual_fmac_f32 v37, 0x3e9e377a, v2 :: v_dual_sub_f32 v2, v8, v4
	s_delay_alu instid0(VALU_DEP_1) | instskip(SKIP_3) | instid1(VALU_DEP_4)
	v_fmamk_f32 v11, v2, 0x3f737871, v3
	v_fmac_f32_e32 v5, 0xbf167918, v2
	v_fmac_f32_e32 v7, 0x3f167918, v2
	v_dual_fmac_f32 v3, 0xbf737871, v2 :: v_dual_add_f32 v2, v8, v4
	v_fmac_f32_e32 v11, 0xbf167918, v9
	s_delay_alu instid0(VALU_DEP_4) | instskip(NEXT) | instid1(VALU_DEP_4)
	v_fmac_f32_e32 v5, 0x3e9e377a, v6
	v_fmac_f32_e32 v7, 0x3e9e377a, v6
	s_delay_alu instid0(VALU_DEP_4) | instskip(SKIP_3) | instid1(VALU_DEP_4)
	v_dual_fmac_f32 v3, 0x3f167918, v9 :: v_dual_add_f32 v6, v12, v44
	v_fma_f32 v9, -0.5, v2, v16
	v_sub_f32_e32 v2, v36, v18
	v_fmac_f32_e32 v11, 0x3e9e377a, v10
	v_fmac_f32_e32 v3, 0x3e9e377a, v10
	v_fmac_f32_e32 v16, -0.5, v6
	v_sub_f32_e32 v6, v12, v8
	v_fmamk_f32 v10, v2, 0x3f737871, v9
	v_sub_f32_e32 v18, v44, v4
	v_dual_sub_f32 v12, v8, v12 :: v_dual_fmac_f32 v9, 0xbf737871, v2
	s_delay_alu instid0(VALU_DEP_3) | instskip(NEXT) | instid1(VALU_DEP_3)
	v_fmac_f32_e32 v10, 0x3f167918, v15
	v_add_f32_e32 v6, v6, v18
	s_delay_alu instid0(VALU_DEP_3) | instskip(NEXT) | instid1(VALU_DEP_2)
	v_add_f32_e32 v12, v12, v43
	v_fmac_f32_e32 v10, 0x3e9e377a, v6
	v_fmamk_f32 v36, v15, 0xbf737871, v16
	v_fmac_f32_e32 v16, 0x3f737871, v15
	s_delay_alu instid0(VALU_DEP_3) | instskip(NEXT) | instid1(VALU_DEP_3)
	v_mul_f32_e32 v49, 0x3f4f1bbd, v10
	v_fmac_f32_e32 v36, 0x3f167918, v2
	s_delay_alu instid0(VALU_DEP_3) | instskip(SKIP_2) | instid1(VALU_DEP_4)
	v_fmac_f32_e32 v16, 0xbf167918, v2
	v_add_f32_e32 v2, v14, v8
	v_mul_f32_e32 v14, 0xbf167918, v10
	v_fmac_f32_e32 v36, 0x3e9e377a, v12
	s_delay_alu instid0(VALU_DEP_4) | instskip(NEXT) | instid1(VALU_DEP_4)
	v_fmac_f32_e32 v16, 0x3e9e377a, v12
	v_add_f32_e32 v2, v2, v4
	v_sub_f32_e32 v12, v45, v13
	s_delay_alu instid0(VALU_DEP_4) | instskip(SKIP_4) | instid1(VALU_DEP_4)
	v_mul_f32_e32 v50, 0x3e9e377a, v36
	v_fmac_f32_e32 v14, 0x3f4f1bbd, v5
	v_fmac_f32_e32 v9, 0xbf167918, v15
	v_mul_f32_e32 v15, 0xbf737871, v36
	v_mul_f32_e32 v18, 0xbf737871, v16
	v_dual_mul_f32 v51, 0xbe9e377a, v16 :: v_dual_add_f32 v4, v19, v14
	v_sub_f32_e32 v14, v19, v14
	v_fmac_f32_e32 v9, 0x3e9e377a, v6
	v_fmac_f32_e32 v15, 0x3e9e377a, v11
	s_delay_alu instid0(VALU_DEP_1) | instskip(SKIP_1) | instid1(VALU_DEP_4)
	v_sub_f32_e32 v16, v46, v15
	v_dual_add_f32 v43, v2, v44 :: v_dual_fmac_f32 v18, 0xbe9e377a, v3
	v_mul_f32_e32 v44, 0xbf167918, v9
	v_mul_f32_e32 v52, 0xbf4f1bbd, v9
	v_fmac_f32_e32 v51, 0x3f737871, v3
	s_delay_alu instid0(VALU_DEP_4) | instskip(SKIP_4) | instid1(VALU_DEP_4)
	v_add_f32_e32 v3, v48, v43
	v_fmac_f32_e32 v49, 0x3f167918, v5
	v_fmac_f32_e32 v44, 0xbf4f1bbd, v7
	v_add_f32_e32 v2, v45, v13
	v_add_f32_e32 v6, v46, v15
	v_dual_add_f32 v8, v40, v18 :: v_dual_add_f32 v5, v17, v49
	s_delay_alu instid0(VALU_DEP_4)
	v_add_f32_e32 v10, v42, v44
	v_fmac_f32_e32 v52, 0x3f167918, v7
	v_fmac_f32_e32 v50, 0x3f737871, v11
	v_add_f32_e32 v9, v41, v51
	v_sub_f32_e32 v13, v48, v43
	v_sub_f32_e32 v15, v17, v49
	v_add_f32_e32 v11, v47, v52
	v_add_f32_e32 v7, v37, v50
	v_sub_f32_e32 v17, v37, v50
	v_sub_f32_e32 v18, v40, v18
	v_add_nc_u32_e32 v40, 0x210, v71
	v_dual_sub_f32 v36, v42, v44 :: v_dual_sub_f32 v19, v41, v51
	v_sub_f32_e32 v37, v47, v52
	ds_store_2addr_b64 v70, v[2:3], v[4:5] offset1:11
	ds_store_2addr_b64 v70, v[6:7], v[8:9] offset0:22 offset1:33
	ds_store_2addr_b64 v70, v[10:11], v[12:13] offset0:44 offset1:55
	;; [unrolled: 1-line block ×4, first 2 shown]
	global_wb scope:SCOPE_SE
	s_wait_dscnt 0x0
	s_barrier_signal -1
	s_barrier_wait -1
	global_inv scope:SCOPE_SE
	ds_load_2addr_b64 v[2:5], v68 offset1:33
	ds_load_2addr_b64 v[6:9], v68 offset0:66 offset1:110
	ds_load_2addr_b64 v[14:17], v68 offset0:220 offset1:253
	;; [unrolled: 1-line block ×3, first 2 shown]
	ds_load_b64 v[18:19], v68 offset:2288
	v_add_nc_u32_e32 v41, 0x108, v71
	s_and_saveexec_b32 s1, s0
	s_cbranch_execz .LBB0_19
; %bb.18:
	ds_load_2addr_b64 v[36:39], v68 offset0:99 offset1:209
	ds_load_b64 v[0:1], v68 offset:2552
.LBB0_19:
	s_wait_alu 0xfffe
	s_or_b32 exec_lo, exec_lo, s1
	s_wait_dscnt 0x2
	v_dual_mul_f32 v42, v29, v9 :: v_dual_mul_f32 v43, v31, v15
	v_mul_f32_e32 v29, v29, v8
	s_delay_alu instid0(VALU_DEP_2) | instskip(NEXT) | instid1(VALU_DEP_3)
	v_dual_mul_f32 v31, v31, v14 :: v_dual_fmac_f32 v42, v28, v8
	v_fmac_f32_e32 v43, v30, v14
	s_delay_alu instid0(VALU_DEP_3)
	v_fma_f32 v9, v28, v9, -v29
	s_wait_dscnt 0x1
	v_mul_f32_e32 v28, v33, v11
	v_mul_f32_e32 v8, v33, v10
	v_fma_f32 v14, v30, v15, -v31
	v_mul_f32_e32 v15, v35, v17
	v_mul_f32_e32 v30, v25, v13
	v_fmac_f32_e32 v28, v32, v10
	v_mul_f32_e32 v10, v35, v16
	v_fma_f32 v29, v32, v11, -v8
	v_fmac_f32_e32 v15, v34, v16
	v_mul_f32_e32 v8, v25, v12
	v_dual_fmac_f32 v30, v24, v12 :: v_dual_add_f32 v11, v2, v42
	v_fma_f32 v16, v34, v17, -v10
	s_wait_dscnt 0x0
	v_mul_f32_e32 v10, v27, v18
	v_mul_f32_e32 v17, v27, v19
	v_fma_f32 v24, v24, v13, -v8
	v_sub_f32_e32 v13, v42, v43
	v_add_f32_e32 v8, v42, v43
	v_fma_f32 v19, v26, v19, -v10
	v_add_f32_e32 v10, v9, v14
	v_dual_sub_f32 v12, v9, v14 :: v_dual_add_f32 v9, v3, v9
	s_delay_alu instid0(VALU_DEP_4) | instskip(SKIP_1) | instid1(VALU_DEP_4)
	v_fma_f32 v2, -0.5, v8, v2
	v_add_f32_e32 v8, v11, v43
	v_fma_f32 v3, -0.5, v10, v3
	v_fmac_f32_e32 v17, v26, v18
	v_dual_add_f32 v9, v9, v14 :: v_dual_add_f32 v14, v4, v28
	v_dual_add_f32 v25, v5, v29 :: v_dual_sub_f32 v26, v28, v15
	s_delay_alu instid0(VALU_DEP_4) | instskip(SKIP_3) | instid1(VALU_DEP_2)
	v_fmamk_f32 v11, v13, 0x3f5db3d7, v3
	v_fmac_f32_e32 v3, 0xbf5db3d7, v13
	v_add_f32_e32 v13, v29, v16
	v_dual_sub_f32 v18, v29, v16 :: v_dual_sub_f32 v27, v30, v17
	v_dual_fmac_f32 v5, -0.5, v13 :: v_dual_fmamk_f32 v10, v12, 0xbf5db3d7, v2
	v_add_f32_e32 v13, v25, v16
	v_fmac_f32_e32 v2, 0x3f5db3d7, v12
	v_dual_add_f32 v12, v28, v15 :: v_dual_add_f32 v25, v6, v30
	s_delay_alu instid0(VALU_DEP_1) | instskip(SKIP_3) | instid1(VALU_DEP_4)
	v_fma_f32 v4, -0.5, v12, v4
	v_add_f32_e32 v12, v14, v15
	v_fmamk_f32 v15, v26, 0x3f5db3d7, v5
	v_dual_fmac_f32 v5, 0xbf5db3d7, v26 :: v_dual_sub_f32 v26, v24, v19
	v_fmamk_f32 v14, v18, 0xbf5db3d7, v4
	v_fmac_f32_e32 v4, 0x3f5db3d7, v18
	v_add_f32_e32 v18, v24, v19
	v_add_f32_e32 v24, v7, v24
	;; [unrolled: 1-line block ×3, first 2 shown]
	ds_store_2addr_b64 v69, v[10:11], v[2:3] offset0:110 offset1:220
	v_lshl_add_u32 v2, v65, 3, v64
	v_fmac_f32_e32 v7, -0.5, v18
	v_fma_f32 v6, -0.5, v16, v6
	v_dual_add_f32 v16, v25, v17 :: v_dual_add_f32 v17, v24, v19
	s_delay_alu instid0(VALU_DEP_3) | instskip(NEXT) | instid1(VALU_DEP_3)
	v_fmamk_f32 v19, v27, 0x3f5db3d7, v7
	v_dual_fmac_f32 v7, 0xbf5db3d7, v27 :: v_dual_fmamk_f32 v18, v26, 0xbf5db3d7, v6
	v_fmac_f32_e32 v6, 0x3f5db3d7, v26
	ds_store_2addr_b64 v69, v[8:9], v[12:13] offset1:33
	ds_store_2addr_b64 v41, v[14:15], v[4:5] offset0:110 offset1:220
	ds_store_b64 v69, v[16:17] offset:528
	ds_store_2addr_b64 v40, v[18:19], v[6:7] offset0:110 offset1:220
	s_and_saveexec_b32 s1, s0
	s_cbranch_execz .LBB0_21
; %bb.20:
	v_dual_mul_f32 v3, v21, v38 :: v_dual_mul_f32 v4, v23, v0
	v_dual_mul_f32 v5, v21, v39 :: v_dual_mul_f32 v6, v23, v1
	s_delay_alu instid0(VALU_DEP_2) | instskip(NEXT) | instid1(VALU_DEP_3)
	v_fma_f32 v3, v20, v39, -v3
	v_fma_f32 v4, v22, v1, -v4
	s_delay_alu instid0(VALU_DEP_3) | instskip(NEXT) | instid1(VALU_DEP_2)
	v_dual_fmac_f32 v5, v20, v38 :: v_dual_fmac_f32 v6, v22, v0
	v_dual_add_f32 v9, v37, v3 :: v_dual_sub_f32 v10, v3, v4
	s_delay_alu instid0(VALU_DEP_2) | instskip(SKIP_1) | instid1(VALU_DEP_2)
	v_dual_add_f32 v0, v3, v4 :: v_dual_sub_f32 v7, v5, v6
	v_dual_add_f32 v8, v5, v6 :: v_dual_add_f32 v5, v36, v5
	v_fma_f32 v1, -0.5, v0, v37
	s_delay_alu instid0(VALU_DEP_4) | instskip(NEXT) | instid1(VALU_DEP_3)
	v_add_f32_e32 v4, v9, v4
	v_fma_f32 v0, -0.5, v8, v36
	s_delay_alu instid0(VALU_DEP_3) | instskip(SKIP_1) | instid1(VALU_DEP_3)
	v_dual_add_f32 v3, v5, v6 :: v_dual_fmamk_f32 v6, v7, 0xbf5db3d7, v1
	v_fmac_f32_e32 v1, 0x3f5db3d7, v7
	v_fmamk_f32 v5, v10, 0x3f5db3d7, v0
	v_fmac_f32_e32 v0, 0xbf5db3d7, v10
	ds_store_2addr_b64 v2, v[3:4], v[0:1] offset0:99 offset1:209
	ds_store_b64 v2, v[5:6] offset:2552
.LBB0_21:
	s_wait_alu 0xfffe
	s_or_b32 exec_lo, exec_lo, s1
	global_wb scope:SCOPE_SE
	s_wait_dscnt 0x0
	s_barrier_signal -1
	s_barrier_wait -1
	global_inv scope:SCOPE_SE
	s_and_b32 exec_lo, exec_lo, vcc_lo
	s_cbranch_execz .LBB0_23
; %bb.22:
	s_clause 0xa
	global_load_b64 v[0:1], v64, s[12:13]
	global_load_b64 v[23:24], v64, s[12:13] offset:240
	global_load_b64 v[25:26], v64, s[12:13] offset:480
	;; [unrolled: 1-line block ×10, first 2 shown]
	v_mad_co_u64_u32 v[43:44], null, s6, v60, 0
	ds_load_b64 v[45:46], v69
	ds_load_2addr_b64 v[3:6], v2 offset0:30 offset1:60
	v_mad_co_u64_u32 v[47:48], null, s4, v63, 0
	ds_load_2addr_b64 v[7:10], v2 offset0:90 offset1:120
	ds_load_2addr_b64 v[11:14], v2 offset0:150 offset1:180
	s_mov_b32 s0, 0x8d3018d3
	v_mov_b32_e32 v15, v44
	s_mov_b32 s1, 0x3f68d301
	s_mul_u64 s[2:3], s[4:5], 0xf0
	v_mov_b32_e32 v44, v48
	s_delay_alu instid0(VALU_DEP_2) | instskip(SKIP_2) | instid1(VALU_DEP_3)
	v_mad_co_u64_u32 v[49:50], null, s7, v60, v[15:16]
	v_add_nc_u32_e32 v19, 0x800, v2
	s_wait_dscnt 0x3
	v_mad_co_u64_u32 v[50:51], null, s5, v63, v[44:45]
	s_delay_alu instid0(VALU_DEP_3)
	v_mov_b32_e32 v44, v49
	ds_load_2addr_b64 v[15:18], v2 offset0:210 offset1:240
	ds_load_2addr_b64 v[19:22], v19 offset0:14 offset1:44
	s_wait_loadcnt 0xa
	v_mul_f32_e32 v2, v46, v1
	s_wait_loadcnt_dscnt 0x904
	v_dual_mul_f32 v1, v45, v1 :: v_dual_mul_f32 v48, v4, v24
	s_wait_loadcnt 0x8
	v_dual_mul_f32 v24, v3, v24 :: v_dual_mul_f32 v49, v6, v26
	s_wait_loadcnt_dscnt 0x502
	v_dual_mul_f32 v26, v5, v26 :: v_dual_mul_f32 v53, v12, v32
	v_mul_f32_e32 v51, v8, v28
	s_delay_alu instid0(VALU_DEP_3)
	v_dual_mul_f32 v28, v7, v28 :: v_dual_fmac_f32 v49, v5, v25
	s_wait_loadcnt_dscnt 0x301
	v_dual_mul_f32 v52, v10, v30 :: v_dual_mul_f32 v55, v16, v36
	s_wait_loadcnt_dscnt 0x100
	v_dual_mul_f32 v30, v9, v30 :: v_dual_mul_f32 v57, v20, v40
	v_mul_f32_e32 v32, v11, v32
	v_fmac_f32_e32 v2, v45, v0
	v_fma_f32 v45, v0, v46, -v1
	v_dual_mul_f32 v54, v14, v34 :: v_dual_fmac_f32 v51, v7, v27
	v_dual_mul_f32 v34, v13, v34 :: v_dual_fmac_f32 v53, v11, v31
	v_fmac_f32_e32 v48, v3, v23
	v_fma_f32 v23, v23, v4, -v24
	v_mul_f32_e32 v36, v15, v36
	v_fma_f32 v24, v25, v6, -v26
	v_dual_mul_f32 v56, v18, v38 :: v_dual_fmac_f32 v55, v15, v35
	v_dual_mul_f32 v38, v17, v38 :: v_dual_fmac_f32 v57, v19, v39
	v_fma_f32 v25, v27, v8, -v28
	v_mul_f32_e32 v40, v19, v40
	v_fmac_f32_e32 v52, v9, v29
	v_fma_f32 v26, v29, v10, -v30
	s_wait_loadcnt 0x0
	v_mul_f32_e32 v58, v22, v42
	v_mul_f32_e32 v42, v21, v42
	v_fma_f32 v27, v31, v12, -v32
	v_cvt_f64_f32_e32 v[0:1], v2
	v_cvt_f64_f32_e32 v[2:3], v45
	v_fmac_f32_e32 v54, v13, v33
	v_fma_f32 v28, v33, v14, -v34
	v_cvt_f64_f32_e32 v[4:5], v48
	v_cvt_f64_f32_e32 v[6:7], v23
	v_fma_f32 v30, v35, v16, -v36
	v_cvt_f64_f32_e32 v[8:9], v49
	v_cvt_f64_f32_e32 v[10:11], v24
	v_fmac_f32_e32 v56, v17, v37
	v_fma_f32 v34, v37, v18, -v38
	v_cvt_f64_f32_e32 v[12:13], v51
	v_cvt_f64_f32_e32 v[14:15], v25
	;; [unrolled: 7-line block ×3, first 2 shown]
	v_cvt_f64_f32_e32 v[24:25], v54
	v_cvt_f64_f32_e32 v[26:27], v28
	v_cvt_f64_f32_e32 v[28:29], v55
	v_cvt_f64_f32_e32 v[30:31], v30
	v_cvt_f64_f32_e32 v[32:33], v56
	v_cvt_f64_f32_e32 v[34:35], v34
	v_cvt_f64_f32_e32 v[36:37], v57
	v_cvt_f64_f32_e32 v[38:39], v38
	v_cvt_f64_f32_e32 v[40:41], v58
	v_cvt_f64_f32_e32 v[45:46], v42
	v_lshlrev_b64_e32 v[42:43], 3, v[43:44]
	v_mov_b32_e32 v48, v50
	s_delay_alu instid0(VALU_DEP_1) | instskip(NEXT) | instid1(VALU_DEP_3)
	v_lshlrev_b64_e32 v[47:48], 3, v[47:48]
	v_add_co_u32 v42, vcc_lo, s8, v42
	s_wait_alu 0xfffe
	v_mul_f64_e32 v[0:1], s[0:1], v[0:1]
	v_mul_f64_e32 v[2:3], s[0:1], v[2:3]
	v_add_co_ci_u32_e32 v43, vcc_lo, s9, v43, vcc_lo
	v_mul_f64_e32 v[4:5], s[0:1], v[4:5]
	v_mul_f64_e32 v[6:7], s[0:1], v[6:7]
	;; [unrolled: 1-line block ×4, first 2 shown]
	v_add_co_u32 v42, vcc_lo, v42, v47
	v_mul_f64_e32 v[12:13], s[0:1], v[12:13]
	v_mul_f64_e32 v[14:15], s[0:1], v[14:15]
	s_wait_alu 0xfffd
	v_add_co_ci_u32_e32 v43, vcc_lo, v43, v48, vcc_lo
	v_mul_f64_e32 v[16:17], s[0:1], v[16:17]
	v_mul_f64_e32 v[18:19], s[0:1], v[18:19]
	;; [unrolled: 1-line block ×14, first 2 shown]
	v_add_co_u32 v46, vcc_lo, v42, s2
	s_wait_alu 0xfffd
	v_add_co_ci_u32_e32 v47, vcc_lo, s3, v43, vcc_lo
	s_delay_alu instid0(VALU_DEP_2) | instskip(SKIP_1) | instid1(VALU_DEP_2)
	v_add_co_u32 v48, vcc_lo, v46, s2
	s_wait_alu 0xfffd
	v_add_co_ci_u32_e32 v49, vcc_lo, s3, v47, vcc_lo
	v_cvt_f32_f64_e32 v0, v[0:1]
	v_cvt_f32_f64_e32 v1, v[2:3]
	v_add_co_u32 v50, vcc_lo, v48, s2
	v_cvt_f32_f64_e32 v2, v[4:5]
	v_cvt_f32_f64_e32 v3, v[6:7]
	;; [unrolled: 1-line block ×4, first 2 shown]
	s_wait_alu 0xfffd
	v_add_co_ci_u32_e32 v51, vcc_lo, s3, v49, vcc_lo
	v_cvt_f32_f64_e32 v6, v[12:13]
	v_cvt_f32_f64_e32 v7, v[14:15]
	v_add_co_u32 v52, vcc_lo, v50, s2
	v_cvt_f32_f64_e32 v8, v[16:17]
	v_cvt_f32_f64_e32 v9, v[18:19]
	s_wait_alu 0xfffd
	v_add_co_ci_u32_e32 v53, vcc_lo, s3, v51, vcc_lo
	v_cvt_f32_f64_e32 v10, v[20:21]
	v_cvt_f32_f64_e32 v11, v[22:23]
	;; [unrolled: 1-line block ×12, first 2 shown]
	v_add_co_u32 v22, vcc_lo, v52, s2
	s_wait_alu 0xfffd
	v_add_co_ci_u32_e32 v23, vcc_lo, s3, v53, vcc_lo
	s_delay_alu instid0(VALU_DEP_2) | instskip(SKIP_1) | instid1(VALU_DEP_2)
	v_add_co_u32 v24, vcc_lo, v22, s2
	s_wait_alu 0xfffd
	v_add_co_ci_u32_e32 v25, vcc_lo, s3, v23, vcc_lo
	s_delay_alu instid0(VALU_DEP_2) | instskip(SKIP_1) | instid1(VALU_DEP_2)
	;; [unrolled: 4-line block ×5, first 2 shown]
	v_add_co_u32 v32, vcc_lo, v30, s2
	s_wait_alu 0xfffd
	v_add_co_ci_u32_e32 v33, vcc_lo, s3, v31, vcc_lo
	s_clause 0x4
	global_store_b64 v[42:43], v[0:1], off
	global_store_b64 v[46:47], v[2:3], off
	;; [unrolled: 1-line block ×11, first 2 shown]
.LBB0_23:
	s_nop 0
	s_sendmsg sendmsg(MSG_DEALLOC_VGPRS)
	s_endpgm
	.section	.rodata,"a",@progbits
	.p2align	6, 0x0
	.amdhsa_kernel bluestein_single_back_len330_dim1_sp_op_CI_CI
		.amdhsa_group_segment_fixed_size 7920
		.amdhsa_private_segment_fixed_size 0
		.amdhsa_kernarg_size 104
		.amdhsa_user_sgpr_count 2
		.amdhsa_user_sgpr_dispatch_ptr 0
		.amdhsa_user_sgpr_queue_ptr 0
		.amdhsa_user_sgpr_kernarg_segment_ptr 1
		.amdhsa_user_sgpr_dispatch_id 0
		.amdhsa_user_sgpr_private_segment_size 0
		.amdhsa_wavefront_size32 1
		.amdhsa_uses_dynamic_stack 0
		.amdhsa_enable_private_segment 0
		.amdhsa_system_sgpr_workgroup_id_x 1
		.amdhsa_system_sgpr_workgroup_id_y 0
		.amdhsa_system_sgpr_workgroup_id_z 0
		.amdhsa_system_sgpr_workgroup_info 0
		.amdhsa_system_vgpr_workitem_id 0
		.amdhsa_next_free_vgpr 152
		.amdhsa_next_free_sgpr 14
		.amdhsa_reserve_vcc 1
		.amdhsa_float_round_mode_32 0
		.amdhsa_float_round_mode_16_64 0
		.amdhsa_float_denorm_mode_32 3
		.amdhsa_float_denorm_mode_16_64 3
		.amdhsa_fp16_overflow 0
		.amdhsa_workgroup_processor_mode 1
		.amdhsa_memory_ordered 1
		.amdhsa_forward_progress 0
		.amdhsa_round_robin_scheduling 0
		.amdhsa_exception_fp_ieee_invalid_op 0
		.amdhsa_exception_fp_denorm_src 0
		.amdhsa_exception_fp_ieee_div_zero 0
		.amdhsa_exception_fp_ieee_overflow 0
		.amdhsa_exception_fp_ieee_underflow 0
		.amdhsa_exception_fp_ieee_inexact 0
		.amdhsa_exception_int_div_zero 0
	.end_amdhsa_kernel
	.text
.Lfunc_end0:
	.size	bluestein_single_back_len330_dim1_sp_op_CI_CI, .Lfunc_end0-bluestein_single_back_len330_dim1_sp_op_CI_CI
                                        ; -- End function
	.section	.AMDGPU.csdata,"",@progbits
; Kernel info:
; codeLenInByte = 12004
; NumSgprs: 16
; NumVgprs: 152
; ScratchSize: 0
; MemoryBound: 0
; FloatMode: 240
; IeeeMode: 1
; LDSByteSize: 7920 bytes/workgroup (compile time only)
; SGPRBlocks: 1
; VGPRBlocks: 18
; NumSGPRsForWavesPerEU: 16
; NumVGPRsForWavesPerEU: 152
; Occupancy: 9
; WaveLimiterHint : 1
; COMPUTE_PGM_RSRC2:SCRATCH_EN: 0
; COMPUTE_PGM_RSRC2:USER_SGPR: 2
; COMPUTE_PGM_RSRC2:TRAP_HANDLER: 0
; COMPUTE_PGM_RSRC2:TGID_X_EN: 1
; COMPUTE_PGM_RSRC2:TGID_Y_EN: 0
; COMPUTE_PGM_RSRC2:TGID_Z_EN: 0
; COMPUTE_PGM_RSRC2:TIDIG_COMP_CNT: 0
	.text
	.p2alignl 7, 3214868480
	.fill 96, 4, 3214868480
	.type	__hip_cuid_9baa19947bb4466,@object ; @__hip_cuid_9baa19947bb4466
	.section	.bss,"aw",@nobits
	.globl	__hip_cuid_9baa19947bb4466
__hip_cuid_9baa19947bb4466:
	.byte	0                               ; 0x0
	.size	__hip_cuid_9baa19947bb4466, 1

	.ident	"AMD clang version 19.0.0git (https://github.com/RadeonOpenCompute/llvm-project roc-6.4.0 25133 c7fe45cf4b819c5991fe208aaa96edf142730f1d)"
	.section	".note.GNU-stack","",@progbits
	.addrsig
	.addrsig_sym __hip_cuid_9baa19947bb4466
	.amdgpu_metadata
---
amdhsa.kernels:
  - .args:
      - .actual_access:  read_only
        .address_space:  global
        .offset:         0
        .size:           8
        .value_kind:     global_buffer
      - .actual_access:  read_only
        .address_space:  global
        .offset:         8
        .size:           8
        .value_kind:     global_buffer
      - .actual_access:  read_only
        .address_space:  global
        .offset:         16
        .size:           8
        .value_kind:     global_buffer
      - .actual_access:  read_only
        .address_space:  global
        .offset:         24
        .size:           8
        .value_kind:     global_buffer
      - .actual_access:  read_only
        .address_space:  global
        .offset:         32
        .size:           8
        .value_kind:     global_buffer
      - .offset:         40
        .size:           8
        .value_kind:     by_value
      - .address_space:  global
        .offset:         48
        .size:           8
        .value_kind:     global_buffer
      - .address_space:  global
        .offset:         56
        .size:           8
        .value_kind:     global_buffer
      - .address_space:  global
        .offset:         64
        .size:           8
        .value_kind:     global_buffer
      - .address_space:  global
        .offset:         72
        .size:           8
        .value_kind:     global_buffer
      - .offset:         80
        .size:           4
        .value_kind:     by_value
      - .address_space:  global
        .offset:         88
        .size:           8
        .value_kind:     global_buffer
      - .address_space:  global
        .offset:         96
        .size:           8
        .value_kind:     global_buffer
    .group_segment_fixed_size: 7920
    .kernarg_segment_align: 8
    .kernarg_segment_size: 104
    .language:       OpenCL C
    .language_version:
      - 2
      - 0
    .max_flat_workgroup_size: 99
    .name:           bluestein_single_back_len330_dim1_sp_op_CI_CI
    .private_segment_fixed_size: 0
    .sgpr_count:     16
    .sgpr_spill_count: 0
    .symbol:         bluestein_single_back_len330_dim1_sp_op_CI_CI.kd
    .uniform_work_group_size: 1
    .uses_dynamic_stack: false
    .vgpr_count:     152
    .vgpr_spill_count: 0
    .wavefront_size: 32
    .workgroup_processor_mode: 1
amdhsa.target:   amdgcn-amd-amdhsa--gfx1201
amdhsa.version:
  - 1
  - 2
...

	.end_amdgpu_metadata
